;; amdgpu-corpus repo=ROCm/rocFFT kind=compiled arch=gfx1030 opt=O3
	.text
	.amdgcn_target "amdgcn-amd-amdhsa--gfx1030"
	.amdhsa_code_object_version 6
	.protected	bluestein_single_fwd_len1287_dim1_sp_op_CI_CI ; -- Begin function bluestein_single_fwd_len1287_dim1_sp_op_CI_CI
	.globl	bluestein_single_fwd_len1287_dim1_sp_op_CI_CI
	.p2align	8
	.type	bluestein_single_fwd_len1287_dim1_sp_op_CI_CI,@function
bluestein_single_fwd_len1287_dim1_sp_op_CI_CI: ; @bluestein_single_fwd_len1287_dim1_sp_op_CI_CI
; %bb.0:
	s_load_dwordx4 s[8:11], s[4:5], 0x28
	v_mul_u32_u24_e32 v1, 0x231, v0
	v_mov_b32_e32 v93, 0
	s_mov_b32 s0, exec_lo
	v_lshrrev_b32_e32 v1, 16, v1
	v_add_nc_u32_e32 v92, s6, v1
	s_waitcnt lgkmcnt(0)
	v_cmpx_gt_u64_e64 s[8:9], v[92:93]
	s_cbranch_execz .LBB0_31
; %bb.1:
	s_clause 0x1
	s_load_dwordx4 s[0:3], s[4:5], 0x18
	s_load_dwordx2 s[6:7], s[4:5], 0x0
	v_mul_lo_u16 v1, 0x75, v1
	v_sub_nc_u16 v26, v0, v1
	v_and_b32_e32 v118, 0xffff, v26
	v_lshlrev_b32_e32 v117, 3, v118
	s_waitcnt lgkmcnt(0)
	s_load_dwordx4 s[12:15], s[0:1], 0x0
	s_clause 0x2
	global_load_dwordx2 v[103:104], v117, s[6:7]
	global_load_dwordx2 v[93:94], v117, s[6:7] offset:936
	global_load_dwordx2 v[90:91], v117, s[6:7] offset:1872
	v_add_co_u32 v64, s0, s6, v117
	v_add_co_ci_u32_e64 v65, null, s7, 0, s0
	v_add_co_u32 v88, vcc_lo, 0x800, v64
	v_add_co_ci_u32_e32 v89, vcc_lo, 0, v65, vcc_lo
	v_add_co_u32 v84, vcc_lo, 0x1800, v64
	v_add_co_ci_u32_e32 v85, vcc_lo, 0, v65, vcc_lo
	;; [unrolled: 2-line block ×3, first 2 shown]
	s_waitcnt lgkmcnt(0)
	v_mad_u64_u32 v[0:1], null, s14, v92, 0
	v_mad_u64_u32 v[2:3], null, s12, v118, 0
	v_add_co_u32 v86, vcc_lo, 0x2000, v64
	v_add_co_ci_u32_e32 v87, vcc_lo, 0, v65, vcc_lo
	s_mul_i32 s1, s13, 0x1ad
	s_mul_hi_u32 s7, s12, 0x1ad
	v_mad_u64_u32 v[6:7], null, s15, v92, v[1:2]
	v_mad_u64_u32 v[7:8], null, s13, v118, v[3:4]
	s_mul_i32 s0, s12, 0x1ad
	s_mul_hi_u32 s9, s12, 0xfffffd1b
	s_add_i32 s1, s7, s1
	s_mul_i32 s8, s13, 0xfffffd1b
	v_mov_b32_e32 v1, v6
	s_mul_i32 s6, s12, 0xfffffd1b
	v_mov_b32_e32 v3, v7
	s_sub_i32 s7, s9, s12
	s_lshl_b64 s[12:13], s[0:1], 3
	v_lshlrev_b64 v[0:1], 3, v[0:1]
	s_add_i32 s7, s7, s8
	v_lshlrev_b64 v[2:3], 3, v[2:3]
	s_lshl_b64 s[0:1], s[6:7], 3
	s_clause 0x3
	global_load_dwordx2 v[95:96], v[4:5], off offset:272
	global_load_dwordx2 v[107:108], v[88:89], off offset:1384
	;; [unrolled: 1-line block ×4, first 2 shown]
	v_add_co_u32 v0, vcc_lo, s10, v0
	v_add_co_ci_u32_e32 v1, vcc_lo, s11, v1, vcc_lo
	v_add_co_u32 v0, vcc_lo, v0, v2
	v_add_co_ci_u32_e32 v1, vcc_lo, v1, v3, vcc_lo
	;; [unrolled: 2-line block ×5, first 2 shown]
	s_clause 0x2
	global_load_dwordx2 v[10:11], v[0:1], off
	global_load_dwordx2 v[12:13], v[2:3], off
	;; [unrolled: 1-line block ×3, first 2 shown]
	v_add_co_u32 v0, vcc_lo, v8, s12
	v_add_co_ci_u32_e32 v1, vcc_lo, s13, v9, vcc_lo
	global_load_dwordx2 v[8:9], v[8:9], off
	v_add_co_u32 v2, vcc_lo, v0, s12
	v_add_co_ci_u32_e32 v3, vcc_lo, s13, v1, vcc_lo
	global_load_dwordx2 v[14:15], v[0:1], off
	;; [unrolled: 3-line block ×4, first 2 shown]
	v_add_co_u32 v0, vcc_lo, v2, s12
	v_add_co_ci_u32_e32 v1, vcc_lo, s13, v3, vcc_lo
	global_load_dwordx2 v[99:100], v[4:5], off offset:1208
	global_load_dwordx2 v[3:4], v[2:3], off
	global_load_dwordx2 v[101:102], v[86:87], off offset:544
	global_load_dwordx2 v[20:21], v[0:1], off
	s_load_dwordx2 s[6:7], s[4:5], 0x38
	s_load_dwordx4 s[8:11], s[2:3], 0x0
	v_add_nc_u32_e32 v2, 0x1000, v117
	v_cmp_gt_u16_e32 vcc_lo, 0x4e, v26
	s_waitcnt vmcnt(10)
	v_mul_f32_e32 v27, v10, v104
	v_mul_f32_e32 v5, v11, v104
	s_waitcnt vmcnt(8)
	v_mul_f32_e32 v24, v7, v106
	v_mul_f32_e32 v25, v6, v106
	v_mul_f32_e32 v22, v13, v108
	v_mul_f32_e32 v23, v12, v108
	v_fmac_f32_e32 v5, v10, v103
	v_fmac_f32_e32 v24, v6, v105
	v_fma_f32 v25, v7, v105, -v25
	s_waitcnt vmcnt(7)
	v_mul_f32_e32 v7, v9, v94
	v_fma_f32 v6, v11, v103, -v27
	v_mul_f32_e32 v11, v8, v94
	s_waitcnt vmcnt(6)
	v_mul_f32_e32 v10, v15, v96
	v_fmac_f32_e32 v22, v12, v107
	v_fmac_f32_e32 v7, v8, v93
	v_fma_f32 v23, v13, v107, -v23
	v_fma_f32 v8, v9, v93, -v11
	v_mul_f32_e32 v9, v14, v96
	s_waitcnt vmcnt(5)
	v_mul_f32_e32 v12, v17, v98
	v_mul_f32_e32 v13, v16, v98
	v_fmac_f32_e32 v10, v14, v95
	ds_write_b64 v117, v[22:23] offset:3432
	ds_write_b64 v117, v[24:25] offset:6864
	s_waitcnt vmcnt(4)
	v_mul_f32_e32 v14, v19, v91
	v_fma_f32 v11, v15, v95, -v9
	v_mul_f32_e32 v9, v18, v91
	v_fmac_f32_e32 v12, v16, v97
	v_fma_f32 v13, v17, v97, -v13
	s_waitcnt vmcnt(2)
	v_mul_f32_e32 v16, v4, v100
	v_mul_f32_e32 v17, v3, v100
	v_fmac_f32_e32 v14, v18, v90
	s_waitcnt vmcnt(0)
	v_mul_f32_e32 v18, v21, v102
	v_mul_f32_e32 v22, v20, v102
	v_fma_f32 v15, v19, v90, -v9
	v_fmac_f32_e32 v16, v3, v99
	v_fma_f32 v17, v4, v99, -v17
	v_fmac_f32_e32 v18, v20, v101
	v_fma_f32 v19, v21, v101, -v22
	v_add_nc_u32_e32 v3, 0x1c00, v117
	ds_write2_b64 v117, v[5:6], v[7:8] offset1:117
	ds_write_b64 v117, v[14:15] offset:1872
	ds_write2_b64 v2, v[10:11], v[16:17] offset0:34 offset1:151
	ds_write2_b64 v3, v[12:13], v[18:19] offset0:79 offset1:196
	s_and_saveexec_b32 s2, vcc_lo
	s_cbranch_execz .LBB0_3
; %bb.2:
	v_add_co_u32 v0, s0, v0, s0
	v_add_co_ci_u32_e64 v1, s0, s1, v1, s0
	global_load_dwordx2 v[5:6], v[88:89], off offset:760
	global_load_dwordx2 v[3:4], v[0:1], off
	v_add_co_u32 v0, s0, v0, s12
	v_add_co_ci_u32_e64 v1, s0, s13, v1, s0
	v_add_co_u32 v7, s0, v0, s12
	v_add_co_ci_u32_e64 v8, s0, s13, v1, s0
	global_load_dwordx2 v[0:1], v[0:1], off
	s_clause 0x1
	global_load_dwordx2 v[9:10], v[84:85], off offset:96
	global_load_dwordx2 v[11:12], v[86:87], off offset:1480
	global_load_dwordx2 v[7:8], v[7:8], off
	s_waitcnt vmcnt(4)
	v_mul_f32_e32 v13, v4, v6
	v_mul_f32_e32 v14, v3, v6
	v_fmac_f32_e32 v13, v3, v5
	v_fma_f32 v14, v4, v5, -v14
	s_waitcnt vmcnt(2)
	v_mul_f32_e32 v3, v1, v10
	v_mul_f32_e32 v10, v0, v10
	s_waitcnt vmcnt(0)
	v_mul_f32_e32 v6, v8, v12
	v_mul_f32_e32 v12, v7, v12
	v_fmac_f32_e32 v3, v0, v9
	v_fma_f32 v4, v1, v9, -v10
	v_fmac_f32_e32 v6, v7, v11
	v_fma_f32 v7, v8, v11, -v12
	ds_write_b64 v117, v[13:14] offset:2808
	ds_write_b64 v117, v[3:4] offset:6240
	;; [unrolled: 1-line block ×3, first 2 shown]
.LBB0_3:
	s_or_b32 exec_lo, exec_lo, s2
	v_add_nc_u32_e32 v0, 0x600, v117
	v_add_nc_u32_e32 v1, 0x1800, v117
	s_waitcnt lgkmcnt(0)
	s_barrier
	buffer_gl0_inv
	ds_read2_b64 v[36:39], v117 offset1:117
	ds_read2_b64 v[28:31], v0 offset0:42 offset1:237
	ds_read2_b64 v[4:7], v1 offset0:90 offset1:207
	;; [unrolled: 1-line block ×3, first 2 shown]
	ds_read_b64 v[12:13], v117 offset:8736
                                        ; implicit-def: $vgpr34
                                        ; implicit-def: $vgpr8
                                        ; implicit-def: $vgpr10
	s_and_saveexec_b32 s0, vcc_lo
	s_cbranch_execz .LBB0_5
; %bb.4:
	ds_read_b64 v[34:35], v117 offset:2808
	ds_read_b64 v[8:9], v117 offset:6240
	;; [unrolled: 1-line block ×3, first 2 shown]
.LBB0_5:
	s_or_b32 exec_lo, exec_lo, s0
	v_add_co_u32 v66, s0, 0x75, v118
	s_waitcnt lgkmcnt(3)
	v_add_f32_e32 v15, v36, v30
	s_waitcnt lgkmcnt(2)
	v_add_f32_e32 v16, v31, v5
	v_add_co_ci_u32_e64 v14, null, 0, 0, s0
	v_add_co_u32 v67, s0, 0xea, v118
	v_add_co_ci_u32_e64 v14, null, 0, 0, s0
	v_add_f32_e32 v14, v30, v4
	v_add_f32_e32 v24, v15, v4
	;; [unrolled: 1-line block ×3, first 2 shown]
	v_fma_f32 v41, -0.5, v16, v37
	v_sub_f32_e32 v4, v30, v4
	v_fma_f32 v40, -0.5, v14, v36
	v_sub_f32_e32 v14, v31, v5
	v_add_f32_e32 v25, v15, v5
	s_waitcnt lgkmcnt(1)
	v_add_f32_e32 v5, v0, v6
	v_fmamk_f32 v27, v4, 0xbf5db3d7, v41
	v_fmac_f32_e32 v41, 0x3f5db3d7, v4
	v_add_f32_e32 v4, v1, v7
	v_fmamk_f32 v26, v14, 0x3f5db3d7, v40
	v_fmac_f32_e32 v40, 0xbf5db3d7, v14
	v_add_f32_e32 v14, v38, v0
	v_fma_f32 v38, -0.5, v5, v38
	v_sub_f32_e32 v5, v1, v7
	v_add_f32_e32 v1, v39, v1
	v_fmac_f32_e32 v39, -0.5, v4
	v_sub_f32_e32 v0, v0, v6
	v_add_f32_e32 v4, v28, v2
	s_load_dwordx2 s[2:3], s[4:5], 0x8
	v_add_f32_e32 v37, v1, v7
	s_waitcnt lgkmcnt(0)
	v_add_f32_e32 v1, v2, v12
	v_fmamk_f32 v33, v0, 0xbf5db3d7, v39
	v_fmac_f32_e32 v39, 0x3f5db3d7, v0
	v_add_f32_e32 v0, v3, v13
	v_add_co_u32 v68, null, 0x15f, v118
	v_fma_f32 v28, -0.5, v1, v28
	v_sub_f32_e32 v1, v3, v13
	v_add_f32_e32 v3, v29, v3
	v_fmac_f32_e32 v29, -0.5, v0
	v_sub_f32_e32 v0, v2, v12
	v_add_f32_e32 v2, v8, v10
	v_fmamk_f32 v46, v1, 0x3f5db3d7, v28
	v_fmac_f32_e32 v28, 0xbf5db3d7, v1
	v_add_f32_e32 v45, v3, v13
	v_fmamk_f32 v47, v0, 0xbf5db3d7, v29
	v_add_f32_e32 v1, v34, v8
	v_fmac_f32_e32 v34, -0.5, v2
	v_sub_f32_e32 v2, v9, v11
	v_add_f32_e32 v3, v9, v11
	v_fmac_f32_e32 v29, 0x3f5db3d7, v0
	v_add_f32_e32 v0, v35, v9
	v_add_f32_e32 v30, v1, v10
	v_fmamk_f32 v48, v2, 0x3f5db3d7, v34
	v_fmac_f32_e32 v35, -0.5, v3
	v_sub_f32_e32 v1, v8, v10
	v_fmac_f32_e32 v34, 0xbf5db3d7, v2
	v_add_f32_e32 v31, v0, v11
	v_mul_lo_u16 v0, v118, 3
	v_mov_b32_e32 v2, 3
	v_fmamk_f32 v49, v1, 0xbf5db3d7, v35
	v_fmac_f32_e32 v35, 0x3f5db3d7, v1
	v_mul_u32_u24_e32 v1, 3, v66
	v_add_f32_e32 v36, v14, v6
	v_lshlrev_b32_sdwa v122, v2, v0 dst_sel:DWORD dst_unused:UNUSED_PAD src0_sel:DWORD src1_sel:WORD_0
	v_mul_u32_u24_e32 v0, 3, v67
	v_fmamk_f32 v32, v5, 0x3f5db3d7, v38
	v_fmac_f32_e32 v38, 0xbf5db3d7, v5
	v_add_f32_e32 v44, v4, v12
	v_lshlrev_b32_e32 v124, 3, v1
	v_lshlrev_b32_e32 v121, 3, v0
	v_mul_u32_u24_e32 v123, 3, v68
	s_barrier
	buffer_gl0_inv
	ds_write2_b64 v122, v[24:25], v[26:27] offset1:1
	ds_write_b64 v122, v[40:41] offset:16
	ds_write2_b64 v124, v[36:37], v[32:33] offset1:1
	ds_write_b64 v124, v[38:39] offset:16
	;; [unrolled: 2-line block ×3, first 2 shown]
	s_and_saveexec_b32 s0, vcc_lo
	s_cbranch_execz .LBB0_7
; %bb.6:
	v_lshlrev_b32_e32 v0, 3, v123
	ds_write2_b64 v0, v[30:31], v[48:49] offset1:1
	ds_write_b64 v0, v[34:35] offset:16
.LBB0_7:
	s_or_b32 exec_lo, exec_lo, s0
	v_cmp_gt_u16_e64 s0, 0x63, v118
	s_waitcnt lgkmcnt(0)
	s_barrier
	buffer_gl0_inv
                                        ; implicit-def: $vgpr50
	s_and_saveexec_b32 s1, s0
	s_cbranch_execz .LBB0_9
; %bb.8:
	v_add_nc_u32_e32 v0, 0x1800, v117
	v_add_nc_u32_e32 v1, 0x1c00, v117
	;; [unrolled: 1-line block ×3, first 2 shown]
	ds_read2_b64 v[28:31], v0 offset0:24 offset1:123
	v_add_nc_u32_e32 v0, 0x400, v117
	ds_read2_b64 v[32:35], v1 offset0:94 offset1:193
	ds_read2_b64 v[36:39], v2 offset0:140 offset1:239
	;; [unrolled: 1-line block ×3, first 2 shown]
	v_add_nc_u32_e32 v0, 0x1000, v117
	ds_read2_b64 v[24:27], v117 offset1:99
	ds_read_b64 v[50:51], v117 offset:9504
	ds_read2_b64 v[44:47], v0 offset0:82 offset1:181
	s_waitcnt lgkmcnt(5)
	v_mov_b32_e32 v48, v32
	v_mov_b32_e32 v49, v33
	s_waitcnt lgkmcnt(4)
	v_mov_b32_e32 v32, v36
	v_mov_b32_e32 v33, v37
	;; [unrolled: 3-line block ×3, first 2 shown]
.LBB0_9:
	s_or_b32 exec_lo, exec_lo, s1
	v_and_b32_e32 v69, 0xff, v118
	v_mul_lo_u16 v0, 0xab, v69
	v_lshrrev_b16 v120, 9, v0
	v_mul_lo_u16 v0, v120, 3
	v_sub_nc_u16 v0, v118, v0
	v_and_b32_e32 v119, 0xff, v0
	v_mul_u32_u24_e32 v0, 12, v119
	v_lshlrev_b32_e32 v4, 3, v0
	s_clause 0x5
	global_load_dwordx4 v[20:23], v4, s[2:3]
	global_load_dwordx4 v[16:19], v4, s[2:3] offset:16
	global_load_dwordx4 v[12:15], v4, s[2:3] offset:32
	;; [unrolled: 1-line block ×5, first 2 shown]
	s_waitcnt vmcnt(0) lgkmcnt(0)
	s_barrier
	buffer_gl0_inv
	v_mul_f32_e32 v56, v27, v21
	v_mul_f32_e32 v73, v26, v21
	;; [unrolled: 1-line block ×9, first 2 shown]
	v_fma_f32 v74, v26, v20, -v56
	v_fmac_f32_e32 v73, v27, v20
	v_fma_f32 v26, v50, v6, -v80
	v_fmac_f32_e32 v43, v51, v6
	v_mul_f32_e32 v71, v36, v17
	v_mul_f32_e32 v59, v33, v19
	;; [unrolled: 1-line block ×7, first 2 shown]
	v_fma_f32 v40, v40, v22, -v57
	v_fmac_f32_e32 v72, v41, v22
	v_fma_f32 v27, v34, v4, -v79
	v_fmac_f32_e32 v42, v35, v4
	v_sub_f32_e32 v139, v74, v26
	v_sub_f32_e32 v129, v73, v43
	v_mul_f32_e32 v70, v32, v19
	v_mul_f32_e32 v60, v39, v13
	;; [unrolled: 1-line block ×6, first 2 shown]
	v_fmac_f32_e32 v63, v39, v12
	v_fma_f32 v39, v36, v16, -v58
	v_fmac_f32_e32 v71, v37, v16
	v_fma_f32 v37, v32, v18, -v59
	v_fma_f32 v36, v44, v14, -v61
	;; [unrolled: 1-line block ×4, first 2 shown]
	v_fmac_f32_e32 v52, v49, v10
	v_add_f32_e32 v34, v74, v26
	v_add_f32_e32 v44, v73, v43
	v_sub_f32_e32 v137, v40, v27
	v_sub_f32_e32 v116, v72, v42
	v_mul_f32_e32 v82, 0xbeedf032, v129
	v_mul_f32_e32 v112, 0xbeedf032, v139
	v_mul_f32_e32 v125, 0xbf52af12, v129
	v_mul_f32_e32 v136, 0xbf52af12, v139
	v_mul_f32_e32 v150, 0xbf7e222b, v129
	v_mul_f32_e32 v156, 0xbf7e222b, v139
	v_mul_f32_e32 v161, 0xbf6f5d39, v129
	v_mul_f32_e32 v168, 0xbf6f5d39, v139
	v_fmac_f32_e32 v70, v33, v18
	v_fmac_f32_e32 v54, v29, v2
	v_fma_f32 v29, v30, v8, -v77
	v_fmac_f32_e32 v53, v31, v8
	v_add_f32_e32 v31, v40, v27
	v_add_f32_e32 v35, v72, v42
	v_sub_f32_e32 v114, v71, v52
	v_sub_f32_e32 v138, v39, v28
	v_mul_f32_e32 v80, 0xbf52af12, v116
	v_mul_f32_e32 v111, 0xbf52af12, v137
	;; [unrolled: 1-line block ×8, first 2 shown]
	v_fmamk_f32 v56, v34, 0x3f62ad3f, v82
	v_fma_f32 v57, 0x3f62ad3f, v44, -v112
	v_fmamk_f32 v173, v34, 0x3f116cb1, v125
	v_fma_f32 v175, 0x3f116cb1, v44, -v136
	;; [unrolled: 2-line block ×4, first 2 shown]
	v_mul_f32_e32 v75, v47, v1
	v_mul_f32_e32 v55, v46, v1
	v_fma_f32 v38, v38, v12, -v60
	v_add_f32_e32 v30, v39, v28
	v_add_f32_e32 v41, v71, v52
	v_sub_f32_e32 v134, v70, v53
	v_sub_f32_e32 v141, v37, v29
	v_mul_f32_e32 v78, 0xbf7e222b, v114
	v_mul_f32_e32 v83, 0xbf7e222b, v138
	;; [unrolled: 1-line block ×8, first 2 shown]
	v_fmamk_f32 v58, v31, 0x3f116cb1, v80
	v_fma_f32 v59, 0x3f116cb1, v35, -v111
	v_fmamk_f32 v174, v31, 0xbeb58ec6, v115
	v_fma_f32 v176, 0xbeb58ec6, v35, -v135
	;; [unrolled: 2-line block ×4, first 2 shown]
	v_add_f32_e32 v56, v24, v56
	v_add_f32_e32 v57, v25, v57
	;; [unrolled: 1-line block ×8, first 2 shown]
	v_fmac_f32_e32 v62, v45, v14
	v_fma_f32 v33, v46, v0, -v75
	v_fmac_f32_e32 v55, v47, v0
	v_add_f32_e32 v45, v37, v29
	v_add_f32_e32 v46, v70, v53
	v_sub_f32_e32 v140, v63, v54
	v_sub_f32_e32 v148, v38, v32
	v_mul_f32_e32 v76, 0xbf6f5d39, v134
	v_mul_f32_e32 v81, 0xbf6f5d39, v141
	;; [unrolled: 1-line block ×8, first 2 shown]
	v_fmamk_f32 v60, v30, 0x3df6dbef, v78
	v_fma_f32 v61, 0x3df6dbef, v41, -v83
	v_fmamk_f32 v177, v30, 0xbf788fa5, v126
	v_fma_f32 v178, 0xbf788fa5, v41, -v130
	;; [unrolled: 2-line block ×4, first 2 shown]
	v_add_f32_e32 v56, v58, v56
	v_add_f32_e32 v57, v59, v57
	;; [unrolled: 1-line block ×10, first 2 shown]
	v_sub_f32_e32 v144, v62, v55
	v_sub_f32_e32 v154, v36, v33
	v_mul_f32_e32 v75, 0xbf29c268, v140
	v_mul_f32_e32 v79, 0xbf29c268, v148
	;; [unrolled: 1-line block ×8, first 2 shown]
	v_fmamk_f32 v109, v45, 0xbeb58ec6, v76
	v_fma_f32 v110, 0xbeb58ec6, v46, -v81
	v_fmamk_f32 v179, v45, 0xbf3f9e67, v127
	v_fma_f32 v180, 0xbf3f9e67, v46, -v131
	;; [unrolled: 2-line block ×4, first 2 shown]
	v_add_f32_e32 v56, v60, v56
	v_add_f32_e32 v57, v61, v57
	;; [unrolled: 1-line block ×10, first 2 shown]
	v_mul_f32_e32 v51, 0xbe750f2a, v144
	v_mul_f32_e32 v77, 0xbe750f2a, v154
	;; [unrolled: 1-line block ×8, first 2 shown]
	v_fmamk_f32 v169, v47, 0xbf3f9e67, v75
	v_fma_f32 v170, 0xbf3f9e67, v48, -v79
	v_fmamk_f32 v181, v47, 0x3df6dbef, v128
	v_fma_f32 v182, 0x3df6dbef, v48, -v132
	;; [unrolled: 2-line block ×4, first 2 shown]
	v_add_f32_e32 v56, v109, v56
	v_add_f32_e32 v57, v110, v57
	;; [unrolled: 1-line block ×8, first 2 shown]
	v_fmamk_f32 v171, v49, 0xbf788fa5, v51
	v_fma_f32 v172, 0xbf788fa5, v50, -v77
	v_fmamk_f32 v183, v49, 0x3f62ad3f, v113
	v_fma_f32 v184, 0x3f62ad3f, v50, -v133
	v_fmamk_f32 v195, v49, 0xbf3f9e67, v142
	v_fma_f32 v196, 0xbf3f9e67, v50, -v146
	v_fmamk_f32 v207, v49, 0x3f116cb1, v157
	v_fma_f32 v208, 0x3f116cb1, v50, -v163
	v_add_f32_e32 v56, v169, v56
	v_add_f32_e32 v57, v170, v57
	v_add_f32_e32 v58, v181, v58
	v_add_f32_e32 v59, v182, v59
	v_add_f32_e32 v60, v193, v60
	v_add_f32_e32 v61, v194, v61
	v_add_f32_e32 v169, v205, v109
	v_add_f32_e32 v170, v206, v110
	v_add_f32_e32 v109, v171, v56
	v_add_f32_e32 v110, v172, v57
	v_add_f32_e32 v58, v183, v58
	v_add_f32_e32 v59, v184, v59
	v_add_f32_e32 v60, v195, v60
	v_add_f32_e32 v61, v196, v61
	v_add_f32_e32 v56, v207, v169
	v_add_f32_e32 v57, v208, v170
	s_and_saveexec_b32 s1, s0
	s_cbranch_execz .LBB0_11
; %bb.10:
	v_mul_f32_e32 v207, 0xbe750f2a, v139
	v_mul_f32_e32 v213, 0x3eedf032, v137
	v_mul_f32_e32 v218, 0xbf29c268, v138
	v_mul_f32_e32 v221, 0xbe750f2a, v129
	v_mul_f32_e32 v222, 0x3f52af12, v141
	v_fmamk_f32 v212, v44, 0xbf788fa5, v207
	v_fmamk_f32 v217, v35, 0x3f62ad3f, v213
	v_mul_f32_e32 v225, 0x3eedf032, v116
	v_fma_f32 v224, 0xbf788fa5, v34, -v221
	v_mul_f32_e32 v226, 0xbf6f5d39, v148
	v_add_f32_e32 v212, v25, v212
	v_mul_f32_e32 v228, 0xbf29c268, v114
	v_fma_f32 v227, 0x3f62ad3f, v31, -v225
	v_add_f32_e32 v224, v24, v224
	v_mul_f32_e32 v229, 0x3f7e222b, v154
	v_add_f32_e32 v212, v217, v212
	v_fmamk_f32 v217, v41, 0xbf3f9e67, v218
	v_mul_f32_e32 v230, 0x3f52af12, v134
	v_add_f32_e32 v224, v227, v224
	v_fma_f32 v227, 0xbf3f9e67, v30, -v228
	v_mul_f32_e32 v231, 0xbf29c268, v139
	v_add_f32_e32 v212, v217, v212
	v_fmamk_f32 v217, v46, 0x3f116cb1, v222
	v_mul_f32_e32 v232, 0xbf6f5d39, v140
	v_add_f32_e32 v224, v227, v224
	v_fma_f32 v227, 0x3f116cb1, v45, -v230
	v_add_f32_e32 v73, v25, v73
	v_add_f32_e32 v212, v217, v212
	v_fmamk_f32 v217, v48, 0xbeb58ec6, v226
	v_mul_f32_e32 v234, 0xbf52af12, v138
	v_mul_f32_e32 v129, 0xbf29c268, v129
	v_add_f32_e32 v74, v24, v74
	v_add_f32_e32 v72, v73, v72
	;; [unrolled: 1-line block ×3, first 2 shown]
	v_fmamk_f32 v217, v50, 0x3df6dbef, v229
	v_mul_f32_e32 v170, 0x3f62ad3f, v44
	v_mul_f32_e32 v116, 0x3f7e222b, v116
	v_add_f32_e32 v40, v74, v40
	v_add_f32_e32 v71, v72, v71
	;; [unrolled: 1-line block ×3, first 2 shown]
	v_fmamk_f32 v212, v44, 0xbf3f9e67, v231
	v_mul_f32_e32 v217, 0x3f7e222b, v137
	v_add_f32_e32 v137, v227, v224
	v_fma_f32 v224, 0xbeb58ec6, v47, -v232
	v_mul_f32_e32 v227, 0x3f7e222b, v144
	v_add_f32_e32 v212, v25, v212
	v_fmamk_f32 v233, v35, 0x3df6dbef, v217
	v_mul_f32_e32 v176, 0xbeb58ec6, v44
	v_add_f32_e32 v137, v224, v137
	v_fma_f32 v138, 0x3df6dbef, v49, -v227
	v_fmamk_f32 v224, v41, 0x3f116cb1, v234
	v_add_f32_e32 v212, v233, v212
	v_mul_f32_e32 v233, 0x3e750f2a, v141
	v_mul_f32_e32 v178, 0x3f116cb1, v35
	v_add_f32_e32 v138, v138, v137
	v_fma_f32 v137, 0xbf3f9e67, v34, -v129
	v_add_f32_e32 v141, v224, v212
	v_fmamk_f32 v212, v46, 0xbf788fa5, v233
	v_mul_f32_e32 v148, 0x3eedf032, v148
	v_fma_f32 v224, 0x3df6dbef, v31, -v116
	v_add_f32_e32 v137, v24, v137
	v_mul_f32_e32 v235, 0xbf52af12, v114
	v_add_f32_e32 v112, v112, v170
	v_add_f32_e32 v39, v40, v39
	;; [unrolled: 1-line block ×3, first 2 shown]
	v_mul_f32_e32 v169, 0x3f62ad3f, v34
	v_mul_f32_e32 v184, 0xbf3f9e67, v35
	;; [unrolled: 1-line block ×3, first 2 shown]
	v_add_f32_e32 v114, v212, v141
	v_fmamk_f32 v141, v48, 0x3f62ad3f, v148
	v_mul_f32_e32 v154, 0xbf6f5d39, v154
	v_add_f32_e32 v137, v224, v137
	v_fma_f32 v212, 0x3f116cb1, v30, -v235
	v_mul_f32_e32 v134, 0x3e750f2a, v134
	v_add_f32_e32 v168, v168, v176
	v_add_f32_e32 v73, v25, v112
	;; [unrolled: 1-line block ×5, first 2 shown]
	v_mul_f32_e32 v175, 0xbeb58ec6, v34
	v_mul_f32_e32 v192, 0x3f62ad3f, v41
	v_mul_f32_e32 v194, 0xbeb58ec6, v46
	v_add_f32_e32 v114, v141, v114
	v_fmamk_f32 v141, v50, 0xbeb58ec6, v154
	v_add_f32_e32 v137, v212, v137
	v_fma_f32 v176, 0xbf788fa5, v45, -v134
	v_add_f32_e32 v168, v25, v168
	v_add_f32_e32 v167, v167, v184
	v_mul_f32_e32 v184, 0x3eedf032, v140
	v_sub_f32_e32 v72, v169, v82
	v_add_f32_e32 v73, v111, v73
	v_add_f32_e32 v74, v83, v186
	;; [unrolled: 1-line block ×4, first 2 shown]
	v_mul_f32_e32 v200, 0x3df6dbef, v46
	v_mul_f32_e32 v202, 0xbf3f9e67, v48
	v_add_f32_e32 v141, v141, v114
	v_add_f32_e32 v114, v176, v137
	v_sub_f32_e32 v137, v175, v161
	v_add_f32_e32 v140, v167, v168
	v_add_f32_e32 v161, v164, v192
	v_fma_f32 v164, 0x3f62ad3f, v47, -v184
	v_mul_f32_e32 v144, 0xbf6f5d39, v144
	v_add_f32_e32 v70, v24, v72
	v_add_f32_e32 v72, v74, v73
	v_add_f32_e32 v40, v81, v194
	v_add_f32_e32 v36, v37, v36
	v_add_f32_e32 v37, v38, v55
	v_mul_f32_e32 v177, 0x3f116cb1, v31
	v_mul_f32_e32 v174, 0x3df6dbef, v44
	;; [unrolled: 1-line block ×3, first 2 shown]
	v_add_f32_e32 v140, v161, v140
	v_add_f32_e32 v161, v165, v200
	;; [unrolled: 1-line block ×3, first 2 shown]
	v_fma_f32 v164, 0xbeb58ec6, v49, -v144
	v_add_f32_e32 v39, v40, v72
	v_add_f32_e32 v40, v79, v202
	;; [unrolled: 1-line block ×4, first 2 shown]
	v_mul_f32_e32 v185, 0x3df6dbef, v30
	v_sub_f32_e32 v71, v177, v80
	v_mul_f32_e32 v182, 0xbf788fa5, v35
	v_add_f32_e32 v161, v161, v140
	v_add_f32_e32 v140, v164, v114
	;; [unrolled: 1-line block ×7, first 2 shown]
	v_fma_f32 v37, 0xbf788fa5, v44, -v207
	v_mul_f32_e32 v193, 0xbeb58ec6, v45
	v_add_f32_e32 v63, v71, v70
	v_sub_f32_e32 v70, v185, v78
	v_mul_f32_e32 v173, 0x3df6dbef, v34
	v_mul_f32_e32 v190, 0xbeb58ec6, v41
	v_add_f32_e32 v114, v25, v114
	v_add_f32_e32 v155, v155, v182
	;; [unrolled: 1-line block ×6, first 2 shown]
	v_fma_f32 v40, 0x3f62ad3f, v35, -v213
	v_mul_f32_e32 v201, 0xbf3f9e67, v47
	v_add_f32_e32 v62, v70, v63
	v_sub_f32_e32 v38, v193, v76
	v_mul_f32_e32 v172, 0x3f116cb1, v44
	v_mul_f32_e32 v181, 0xbf788fa5, v31
	;; [unrolled: 1-line block ×3, first 2 shown]
	v_sub_f32_e32 v150, v173, v150
	v_add_f32_e32 v114, v155, v114
	v_add_f32_e32 v152, v152, v190
	v_add_f32_e32 v28, v29, v28
	v_add_f32_e32 v29, v36, v42
	v_add_f32_e32 v36, v40, v37
	v_fma_f32 v37, 0xbf3f9e67, v41, -v218
	v_mul_f32_e32 v171, 0x3f116cb1, v34
	v_mul_f32_e32 v210, 0xbf788fa5, v49
	v_add_f32_e32 v38, v38, v62
	v_sub_f32_e32 v54, v201, v75
	v_add_f32_e32 v150, v24, v150
	v_sub_f32_e32 v149, v181, v149
	v_add_f32_e32 v114, v152, v114
	v_add_f32_e32 v152, v153, v198
	;; [unrolled: 1-line block ×6, first 2 shown]
	v_fma_f32 v37, 0xbf3f9e67, v44, -v231
	v_mul_f32_e32 v179, 0xbeb58ec6, v31
	v_mul_f32_e32 v180, 0xbeb58ec6, v35
	v_sub_f32_e32 v125, v171, v125
	v_mul_f32_e32 v183, 0xbf3f9e67, v31
	v_add_f32_e32 v38, v54, v38
	v_sub_f32_e32 v39, v210, v51
	v_fmac_f32_e32 v221, 0xbf788fa5, v34
	v_fmac_f32_e32 v129, 0xbf3f9e67, v34
	v_add_f32_e32 v149, v149, v150
	v_add_f32_e32 v150, v25, v153
	;; [unrolled: 1-line block ×3, first 2 shown]
	v_fma_f32 v34, 0x3df6dbef, v35, -v217
	v_mul_f32_e32 v187, 0xbf788fa5, v30
	v_mul_f32_e32 v188, 0xbf788fa5, v41
	;; [unrolled: 1-line block ×3, first 2 shown]
	v_add_f32_e32 v135, v135, v180
	v_add_f32_e32 v125, v24, v125
	v_sub_f32_e32 v115, v179, v115
	v_mul_f32_e32 v191, 0x3f62ad3f, v30
	v_add_f32_e32 v137, v24, v137
	v_sub_f32_e32 v160, v183, v160
	v_add_f32_e32 v32, v39, v38
	v_add_f32_e32 v38, v24, v221
	v_fmac_f32_e32 v225, 0x3f62ad3f, v31
	v_add_f32_e32 v24, v24, v129
	v_fmac_f32_e32 v116, 0x3df6dbef, v31
	v_add_f32_e32 v25, v34, v25
	v_fma_f32 v31, 0x3f116cb1, v41, -v234
	v_mul_f32_e32 v195, 0xbf3f9e67, v45
	v_mul_f32_e32 v196, 0xbf3f9e67, v46
	;; [unrolled: 1-line block ×3, first 2 shown]
	v_sub_f32_e32 v147, v189, v147
	v_add_f32_e32 v135, v135, v150
	v_add_f32_e32 v130, v130, v188
	;; [unrolled: 1-line block ×3, first 2 shown]
	v_sub_f32_e32 v125, v187, v126
	v_mul_f32_e32 v199, 0x3df6dbef, v45
	v_add_f32_e32 v137, v160, v137
	v_sub_f32_e32 v160, v191, v162
	v_add_f32_e32 v26, v28, v26
	v_add_f32_e32 v28, v225, v38
	v_fmac_f32_e32 v228, 0xbf3f9e67, v30
	v_add_f32_e32 v24, v116, v24
	v_fmac_f32_e32 v235, 0x3f116cb1, v30
	v_add_f32_e32 v25, v31, v25
	v_fma_f32 v30, 0xbf788fa5, v46, -v233
	v_mul_f32_e32 v203, 0x3df6dbef, v47
	v_mul_f32_e32 v204, 0x3df6dbef, v48
	;; [unrolled: 1-line block ×4, first 2 shown]
	v_add_f32_e32 v147, v147, v149
	v_sub_f32_e32 v145, v197, v145
	v_add_f32_e32 v130, v130, v135
	v_add_f32_e32 v131, v131, v196
	v_add_f32_e32 v125, v125, v115
	v_sub_f32_e32 v127, v195, v127
	v_mul_f32_e32 v208, 0xbf788fa5, v47
	v_mul_f32_e32 v209, 0xbf788fa5, v48
	v_add_f32_e32 v137, v160, v137
	v_sub_f32_e32 v156, v199, v158
	v_fma_f32 v36, 0x3f116cb1, v46, -v222
	v_add_f32_e32 v28, v228, v28
	v_fmac_f32_e32 v230, 0x3f116cb1, v45
	v_add_f32_e32 v24, v235, v24
	v_fmac_f32_e32 v134, 0xbf788fa5, v45
	v_add_f32_e32 v25, v30, v25
	v_mov_b32_e32 v30, 39
	v_mul_f32_e32 v214, 0x3f62ad3f, v49
	v_mul_f32_e32 v215, 0x3f62ad3f, v50
	;; [unrolled: 1-line block ×4, first 2 shown]
	v_add_f32_e32 v114, v152, v114
	v_add_f32_e32 v151, v151, v206
	;; [unrolled: 1-line block ×3, first 2 shown]
	v_sub_f32_e32 v135, v205, v143
	v_add_f32_e32 v130, v131, v130
	v_add_f32_e32 v131, v132, v204
	;; [unrolled: 1-line block ×3, first 2 shown]
	v_sub_f32_e32 v127, v203, v128
	v_mul_f32_e32 v220, 0x3f116cb1, v49
	v_mul_f32_e32 v223, 0x3f116cb1, v50
	v_add_f32_e32 v162, v166, v209
	v_add_f32_e32 v156, v156, v137
	v_sub_f32_e32 v159, v208, v159
	v_add_f32_e32 v29, v36, v29
	v_fma_f32 v36, 0xbeb58ec6, v48, -v226
	v_add_f32_e32 v28, v230, v28
	v_fmac_f32_e32 v232, 0xbeb58ec6, v47
	v_fma_f32 v34, 0x3f62ad3f, v48, -v148
	v_add_f32_e32 v24, v134, v24
	v_fmac_f32_e32 v184, 0x3f62ad3f, v47
	v_mul_u32_u24_sdwa v30, v120, v30 dst_sel:DWORD dst_unused:UNUSED_PAD src0_sel:WORD_0 src1_sel:DWORD
	v_add_f32_e32 v114, v151, v114
	v_add_f32_e32 v126, v146, v219
	v_add_f32_e32 v132, v135, v145
	v_sub_f32_e32 v135, v216, v142
	v_add_f32_e32 v130, v131, v130
	v_add_f32_e32 v131, v133, v215
	v_add_f32_e32 v125, v127, v125
	v_sub_f32_e32 v113, v214, v113
	;; [unrolled: 4-line block ×3, first 2 shown]
	v_add_f32_e32 v29, v36, v29
	v_fma_f32 v31, 0x3df6dbef, v50, -v229
	v_add_f32_e32 v28, v232, v28
	v_fmac_f32_e32 v227, 0x3df6dbef, v49
	v_add_f32_e32 v34, v34, v25
	v_fma_f32 v35, 0xbeb58ec6, v50, -v154
	v_add_f32_e32 v36, v184, v24
	v_fmac_f32_e32 v144, 0xbeb58ec6, v49
	v_add_lshl_u32 v30, v30, v119, 3
	v_add_f32_e32 v115, v126, v114
	v_add_f32_e32 v114, v135, v132
	;; [unrolled: 1-line block ×10, first 2 shown]
	ds_write2_b64 v30, v[26:27], v[32:33] offset1:3
	ds_write2_b64 v30, v[125:126], v[114:115] offset0:6 offset1:9
	ds_write2_b64 v30, v[136:137], v[140:141] offset0:12 offset1:15
	;; [unrolled: 1-line block ×5, first 2 shown]
	ds_write_b64 v30, v[109:110] offset:288
.LBB0_11:
	s_or_b32 exec_lo, exec_lo, s1
	v_add_nc_u32_e32 v24, 0x600, v117
	v_add_nc_u32_e32 v25, 0x1800, v117
	;; [unrolled: 1-line block ×3, first 2 shown]
	s_waitcnt lgkmcnt(0)
	s_barrier
	buffer_gl0_inv
	ds_read2_b64 v[36:39], v117 offset1:117
	ds_read2_b64 v[28:31], v24 offset0:42 offset1:237
	ds_read2_b64 v[40:43], v25 offset0:90 offset1:207
	;; [unrolled: 1-line block ×3, first 2 shown]
	ds_read_b64 v[62:63], v117 offset:8736
	s_and_saveexec_b32 s1, vcc_lo
	s_cbranch_execz .LBB0_13
; %bb.12:
	ds_read_b64 v[56:57], v117 offset:2808
	ds_read_b64 v[60:61], v117 offset:6240
	;; [unrolled: 1-line block ×3, first 2 shown]
.LBB0_13:
	s_or_b32 exec_lo, exec_lo, s1
	v_mul_lo_u16 v24, 0xa5, v69
	v_and_b32_e32 v26, 0xff, v66
	v_mov_b32_e32 v25, 0xa41b
	v_mov_b32_e32 v75, 0x75
	v_lshrrev_b16 v24, 8, v24
	v_mul_lo_u16 v26, 0xa5, v26
	v_mul_u32_u24_sdwa v27, v67, v25 dst_sel:DWORD dst_unused:UNUSED_PAD src0_sel:WORD_0 src1_sel:DWORD
	v_mul_u32_u24_sdwa v25, v68, v25 dst_sel:DWORD dst_unused:UNUSED_PAD src0_sel:WORD_0 src1_sel:DWORD
	v_sub_nc_u16 v32, v118, v24
	v_lshrrev_b16 v26, 8, v26
	v_lshrrev_b32_e32 v27, 16, v27
	v_lshrrev_b32_e32 v25, 16, v25
	v_lshrrev_b16 v32, 1, v32
	v_sub_nc_u16 v34, v66, v26
	v_sub_nc_u16 v33, v67, v27
	;; [unrolled: 1-line block ×3, first 2 shown]
	v_and_b32_e32 v32, 0x7f, v32
	v_lshrrev_b16 v34, 1, v34
	v_lshrrev_b16 v33, 1, v33
	;; [unrolled: 1-line block ×3, first 2 shown]
	v_add_nc_u16 v24, v32, v24
	v_and_b32_e32 v32, 0x7f, v34
	v_add_nc_u16 v27, v33, v27
	v_add_nc_u16 v25, v35, v25
	v_lshrrev_b16 v24, 5, v24
	v_add_nc_u16 v26, v32, v26
	v_lshrrev_b16 v69, 5, v27
	v_lshrrev_b16 v70, 5, v25
	v_and_b32_e32 v71, 7, v24
	v_lshrrev_b16 v25, 5, v26
	v_mul_lo_u16 v24, v69, 39
	v_mul_lo_u16 v26, v70, 39
	;; [unrolled: 1-line block ×3, first 2 shown]
	v_and_b32_e32 v72, 7, v25
	v_sub_nc_u16 v67, v67, v24
	v_sub_nc_u16 v68, v68, v26
	;; [unrolled: 1-line block ×3, first 2 shown]
	v_mul_lo_u16 v26, v72, 39
	v_lshlrev_b16 v25, 4, v67
	v_lshlrev_b16 v27, 4, v68
	v_mad_u16 v67, 0x75, v69, v67
	v_and_b32_e32 v73, 0xff, v24
	v_sub_nc_u16 v44, v66, v26
	v_and_b32_e32 v24, 0xffff, v25
	v_and_b32_e32 v26, 0xffff, v27
	v_mul_u32_u24_sdwa v69, v71, v75 dst_sel:DWORD dst_unused:UNUSED_PAD src0_sel:WORD_0 src1_sel:DWORD
	v_lshlrev_b32_e32 v27, 4, v73
	v_and_b32_e32 v74, 0xff, v44
	v_add_co_u32 v24, s1, s2, v24
	v_add_co_ci_u32_e64 v25, null, s3, 0, s1
	v_lshlrev_b32_e32 v44, 4, v74
	v_add_co_u32 v26, s1, s2, v26
	s_clause 0x2
	global_load_dwordx4 v[48:51], v27, s[2:3] offset:288
	global_load_dwordx4 v[32:35], v[24:25], off offset:288
	global_load_dwordx4 v[44:47], v44, s[2:3] offset:288
	v_add_co_ci_u32_e64 v27, null, s3, 0, s1
	v_mul_u32_u24_sdwa v71, v72, v75 dst_sel:DWORD dst_unused:UNUSED_PAD src0_sel:WORD_0 src1_sel:DWORD
	v_mov_b32_e32 v66, 3
	v_mad_u16 v125, 0x75, v70, v68
	global_load_dwordx4 v[24:27], v[26:27], off offset:288
	v_add_lshl_u32 v128, v69, v73, 3
	v_add_lshl_u32 v127, v71, v74, 3
	v_lshlrev_b32_sdwa v126, v66, v67 dst_sel:DWORD dst_unused:UNUSED_PAD src0_sel:DWORD src1_sel:WORD_0
	s_waitcnt vmcnt(0) lgkmcnt(0)
	s_barrier
	buffer_gl0_inv
	v_mul_f32_e32 v69, v31, v49
	v_mul_f32_e32 v70, v30, v49
	;; [unrolled: 1-line block ×7, first 2 shown]
	v_fma_f32 v69, v30, v48, -v69
	v_mul_f32_e32 v77, v61, v25
	v_mul_f32_e32 v68, v60, v25
	;; [unrolled: 1-line block ×4, first 2 shown]
	v_fmac_f32_e32 v70, v31, v48
	v_fma_f32 v71, v40, v50, -v71
	v_fmac_f32_e32 v72, v41, v50
	v_mul_f32_e32 v40, v53, v45
	v_mul_f32_e32 v79, v52, v45
	;; [unrolled: 1-line block ×5, first 2 shown]
	v_fma_f32 v31, v60, v24, -v77
	v_fmac_f32_e32 v68, v61, v24
	v_fma_f32 v30, v58, v26, -v78
	v_fmac_f32_e32 v67, v59, v26
	;; [unrolled: 2-line block ×3, first 2 shown]
	v_fma_f32 v55, v62, v34, -v75
	v_fma_f32 v58, v52, v44, -v40
	v_fmac_f32_e32 v79, v53, v44
	v_fma_f32 v60, v42, v46, -v41
	v_fmac_f32_e32 v80, v43, v46
	v_add_f32_e32 v42, v36, v69
	v_add_f32_e32 v43, v69, v71
	;; [unrolled: 1-line block ×3, first 2 shown]
	v_fmac_f32_e32 v76, v63, v34
	v_add_f32_e32 v61, v70, v72
	v_add_f32_e32 v77, v31, v30
	;; [unrolled: 1-line block ×3, first 2 shown]
	v_sub_f32_e32 v59, v70, v72
	v_sub_f32_e32 v62, v69, v71
	v_add_f32_e32 v69, v54, v55
	v_add_f32_e32 v42, v42, v71
	v_fma_f32 v52, -0.5, v43, v36
	v_add_f32_e32 v43, v53, v72
	v_add_f32_e32 v71, v58, v60
	v_sub_f32_e32 v72, v79, v80
	v_add_f32_e32 v81, v39, v79
	v_add_f32_e32 v79, v79, v80
	v_sub_f32_e32 v70, v74, v76
	;; [unrolled: 3-line block ×3, first 2 shown]
	v_sub_f32_e32 v41, v31, v30
	v_fma_f32 v53, -0.5, v61, v37
	v_fma_f32 v36, -0.5, v77, v56
	;; [unrolled: 1-line block ×3, first 2 shown]
	v_add_f32_e32 v63, v28, v54
	v_add_f32_e32 v61, v38, v58
	v_sub_f32_e32 v82, v58, v60
	v_fma_f32 v28, -0.5, v69, v28
	v_fma_f32 v38, -0.5, v71, v38
	v_fmac_f32_e32 v39, -0.5, v79
	v_sub_f32_e32 v75, v54, v55
	v_fmac_f32_e32 v29, -0.5, v74
	v_fmamk_f32 v58, v59, 0x3f5db3d7, v52
	v_fmac_f32_e32 v52, 0xbf5db3d7, v59
	v_fmamk_f32 v59, v62, 0xbf5db3d7, v53
	v_fmamk_f32 v111, v40, 0xbf5db3d7, v36
	;; [unrolled: 1-line block ×3, first 2 shown]
	v_fmac_f32_e32 v53, 0x3f5db3d7, v62
	v_add_f32_e32 v60, v61, v60
	v_add_f32_e32 v61, v81, v80
	v_fmamk_f32 v62, v70, 0x3f5db3d7, v28
	v_fmac_f32_e32 v28, 0xbf5db3d7, v70
	v_fmamk_f32 v69, v72, 0x3f5db3d7, v38
	v_fmamk_f32 v70, v82, 0xbf5db3d7, v39
	v_fmac_f32_e32 v38, 0xbf5db3d7, v72
	v_fmac_f32_e32 v39, 0x3f5db3d7, v82
	v_add_f32_e32 v54, v63, v55
	v_add_f32_e32 v55, v73, v76
	v_fmamk_f32 v63, v75, 0xbf5db3d7, v29
	v_fmac_f32_e32 v29, 0x3f5db3d7, v75
	ds_write2_b64 v128, v[42:43], v[58:59] offset1:39
	ds_write_b64 v128, v[52:53] offset:624
	ds_write2_b64 v127, v[60:61], v[69:70] offset1:39
	ds_write_b64 v127, v[38:39] offset:624
	;; [unrolled: 2-line block ×3, first 2 shown]
	s_and_saveexec_b32 s1, vcc_lo
	s_cbranch_execz .LBB0_15
; %bb.14:
	v_mul_f32_e32 v28, 0x3f5db3d7, v41
	v_add_f32_e32 v38, v57, v68
	v_mul_f32_e32 v39, 0x3f5db3d7, v40
	v_add_f32_e32 v40, v56, v31
	v_sub_f32_e32 v29, v37, v28
	v_add_f32_e32 v31, v38, v67
	v_add_f32_e32 v28, v39, v36
	v_lshlrev_b32_sdwa v36, v66, v125 dst_sel:DWORD dst_unused:UNUSED_PAD src0_sel:DWORD src1_sel:WORD_0
	v_add_f32_e32 v30, v40, v30
	ds_write2_b64 v36, v[30:31], v[28:29] offset1:39
	ds_write_b64 v36, v[111:112] offset:624
.LBB0_15:
	s_or_b32 exec_lo, exec_lo, s1
	v_mad_u64_u32 v[40:41], null, 0x50, v118, s[2:3]
	s_waitcnt lgkmcnt(0)
	s_barrier
	buffer_gl0_inv
	v_add_nc_u32_e32 v71, 0x400, v117
	v_add_nc_u32_e32 v69, 0xc00, v117
	;; [unrolled: 1-line block ×3, first 2 shown]
	s_clause 0x4
	global_load_dwordx4 v[56:59], v[40:41], off offset:912
	global_load_dwordx4 v[52:55], v[40:41], off offset:928
	;; [unrolled: 1-line block ×5, first 2 shown]
	ds_read2_b64 v[60:63], v117 offset1:117
	v_add_nc_u32_e32 v68, 0x1c00, v117
	ds_read2_b64 v[72:75], v71 offset0:106 offset1:223
	ds_read2_b64 v[76:79], v69 offset0:84 offset1:201
	;; [unrolled: 1-line block ×4, first 2 shown]
	ds_read_b64 v[66:67], v117 offset:9360
	v_add_co_u32 v129, s1, 0x2800, v64
	v_add_co_ci_u32_e64 v130, s1, 0, v65, s1
	s_waitcnt vmcnt(4) lgkmcnt(5)
	v_mul_f32_e32 v131, v63, v57
	v_mul_f32_e32 v132, v62, v57
	s_waitcnt lgkmcnt(4)
	v_mul_f32_e32 v133, v73, v59
	v_mul_f32_e32 v134, v72, v59
	s_waitcnt vmcnt(3)
	v_mul_f32_e32 v135, v75, v53
	s_waitcnt vmcnt(2) lgkmcnt(3)
	v_mul_f32_e32 v139, v79, v37
	s_waitcnt lgkmcnt(2)
	v_mul_f32_e32 v142, v80, v39
	s_waitcnt vmcnt(0) lgkmcnt(1)
	v_mul_f32_e32 v147, v116, v41
	s_waitcnt lgkmcnt(0)
	v_mul_f32_e32 v149, v67, v43
	v_mul_f32_e32 v150, v66, v43
	v_fma_f32 v62, v62, v56, -v131
	v_fmac_f32_e32 v132, v63, v56
	v_mul_f32_e32 v136, v74, v53
	v_mul_f32_e32 v137, v77, v55
	;; [unrolled: 1-line block ×10, first 2 shown]
	v_fma_f32 v63, v72, v58, -v133
	v_fmac_f32_e32 v134, v73, v58
	v_fma_f32 v72, v74, v52, -v135
	v_fma_f32 v74, v78, v36, -v139
	v_fmac_f32_e32 v142, v81, v38
	v_fma_f32 v78, v115, v40, -v147
	v_fma_f32 v81, v66, v42, -v149
	v_fmac_f32_e32 v150, v67, v42
	v_add_f32_e32 v66, v60, v62
	v_add_f32_e32 v67, v61, v132
	v_fmac_f32_e32 v136, v75, v52
	v_fma_f32 v73, v76, v54, -v137
	v_fmac_f32_e32 v138, v77, v54
	v_fmac_f32_e32 v140, v79, v36
	v_fma_f32 v75, v80, v38, -v141
	v_fma_f32 v76, v82, v28, -v143
	v_fmac_f32_e32 v144, v83, v28
	v_fma_f32 v77, v113, v30, -v145
	v_fmac_f32_e32 v146, v114, v30
	v_fmac_f32_e32 v148, v116, v40
	v_add_f32_e32 v79, v62, v81
	v_sub_f32_e32 v62, v62, v81
	v_sub_f32_e32 v82, v132, v150
	v_add_f32_e32 v83, v63, v78
	v_sub_f32_e32 v114, v63, v78
	v_add_f32_e32 v63, v66, v63
	v_add_f32_e32 v66, v67, v134
	;; [unrolled: 1-line block ×4, first 2 shown]
	v_sub_f32_e32 v115, v134, v148
	v_sub_f32_e32 v132, v72, v77
	;; [unrolled: 1-line block ×7, first 2 shown]
	v_mul_f32_e32 v67, 0xbf0a6770, v82
	v_mul_f32_e32 v134, 0xbf0a6770, v62
	v_mul_f32_e32 v151, 0xbf68dda4, v82
	v_mul_f32_e32 v152, 0xbf68dda4, v62
	v_mul_f32_e32 v153, 0xbf7d64f0, v82
	v_mul_f32_e32 v154, 0xbf7d64f0, v62
	v_mul_f32_e32 v155, 0xbf4178ce, v82
	v_mul_f32_e32 v156, 0xbf4178ce, v62
	v_mul_f32_e32 v82, 0xbe903f40, v82
	v_mul_f32_e32 v62, 0xbe903f40, v62
	v_add_f32_e32 v63, v63, v72
	v_add_f32_e32 v66, v66, v136
	;; [unrolled: 1-line block ×8, first 2 shown]
	v_mul_f32_e32 v157, 0xbf68dda4, v115
	v_mul_f32_e32 v158, 0xbf68dda4, v114
	;; [unrolled: 1-line block ×40, first 2 shown]
	v_fma_f32 v72, 0x3f575c64, v79, -v67
	v_fmamk_f32 v136, v80, 0x3f575c64, v134
	v_fmac_f32_e32 v67, 0x3f575c64, v79
	v_fma_f32 v134, 0x3f575c64, v80, -v134
	v_fma_f32 v189, 0x3ed4b147, v79, -v151
	v_fmamk_f32 v190, v80, 0x3ed4b147, v152
	v_fmac_f32_e32 v151, 0x3ed4b147, v79
	v_fma_f32 v152, 0x3ed4b147, v80, -v152
	;; [unrolled: 4-line block ×5, first 2 shown]
	v_add_f32_e32 v63, v63, v73
	v_add_f32_e32 v66, v66, v138
	v_fma_f32 v79, 0x3ed4b147, v83, -v157
	v_fmamk_f32 v80, v113, 0x3ed4b147, v158
	v_fmac_f32_e32 v157, 0x3ed4b147, v83
	v_fma_f32 v158, 0x3ed4b147, v113, -v158
	v_fma_f32 v197, 0xbf27a4f4, v83, -v159
	v_fmamk_f32 v198, v113, 0xbf27a4f4, v160
	v_fmac_f32_e32 v159, 0xbf27a4f4, v83
	v_fma_f32 v160, 0xbf27a4f4, v113, -v160
	;; [unrolled: 4-line block ×20, first 2 shown]
	v_add_f32_e32 v72, v60, v72
	v_add_f32_e32 v73, v61, v136
	;; [unrolled: 1-line block ×112, first 2 shown]
	ds_write2_b64 v117, v[82:83], v[60:61] offset1:117
	ds_write2_b64 v71, v[62:63], v[72:73] offset0:106 offset1:223
	ds_write2_b64 v69, v[76:77], v[80:81] offset0:84 offset1:201
	;; [unrolled: 1-line block ×4, first 2 shown]
	ds_write_b64 v117, v[113:114] offset:9360
	s_waitcnt lgkmcnt(0)
	s_barrier
	buffer_gl0_inv
	global_load_dwordx2 v[71:72], v[129:130], off offset:56
	v_add_co_u32 v60, s1, 0x2838, v64
	v_add_co_ci_u32_e64 v61, s1, 0, v65, s1
	v_add_co_u32 v62, s1, 0x4800, v64
	v_add_co_ci_u32_e64 v63, s1, 0, v65, s1
	;; [unrolled: 2-line block ×3, first 2 shown]
	s_clause 0x1
	global_load_dwordx2 v[81:82], v[60:61], off offset:936
	global_load_dwordx2 v[115:116], v[62:63], off offset:600
	v_add_co_u32 v62, s1, 0x4000, v64
	v_add_co_ci_u32_e64 v63, s1, 0, v65, s1
	v_add_co_u32 v64, s1, 0x3800, v64
	v_add_co_ci_u32_e64 v65, s1, 0, v65, s1
	s_clause 0x5
	global_load_dwordx2 v[133:134], v[73:74], off offset:1440
	global_load_dwordx2 v[135:136], v[62:63], off offset:776
	;; [unrolled: 1-line block ×6, first 2 shown]
	ds_read2_b64 v[62:65], v117 offset1:117
	ds_read_b64 v[145:146], v117 offset:8736
	v_add_nc_u32_e32 v76, 0x1000, v117
	s_waitcnt vmcnt(8) lgkmcnt(1)
	v_mul_f32_e32 v74, v63, v72
	v_mul_f32_e32 v73, v62, v72
	v_fma_f32 v72, v62, v71, -v74
	v_fmac_f32_e32 v73, v63, v71
	v_add_nc_u32_e32 v63, 0x600, v117
	v_add_nc_u32_e32 v62, 0x1800, v117
	ds_write_b64 v117, v[72:73]
	ds_read2_b64 v[71:74], v63 offset0:42 offset1:237
	ds_read2_b64 v[77:80], v62 offset0:90 offset1:207
	;; [unrolled: 1-line block ×3, first 2 shown]
	s_waitcnt vmcnt(7)
	v_mul_f32_e32 v75, v65, v82
	v_mul_f32_e32 v83, v64, v82
	s_waitcnt vmcnt(6) lgkmcnt(4)
	v_mul_f32_e32 v147, v146, v116
	v_mul_f32_e32 v148, v145, v116
	v_fma_f32 v82, v64, v81, -v75
	v_fmac_f32_e32 v83, v65, v81
	v_fma_f32 v147, v145, v115, -v147
	v_fmac_f32_e32 v148, v146, v115
	s_waitcnt vmcnt(5) lgkmcnt(2)
	v_mul_f32_e32 v64, v74, v134
	v_mul_f32_e32 v65, v73, v134
	s_waitcnt vmcnt(3) lgkmcnt(0)
	v_mul_f32_e32 v115, v130, v138
	v_mul_f32_e32 v116, v129, v138
	;; [unrolled: 1-line block ×4, first 2 shown]
	s_waitcnt vmcnt(1)
	v_mul_f32_e32 v145, v80, v142
	v_mul_f32_e32 v134, v79, v142
	s_waitcnt vmcnt(0)
	v_mul_f32_e32 v142, v72, v144
	v_mul_f32_e32 v136, v71, v144
	;; [unrolled: 1-line block ×4, first 2 shown]
	v_fma_f32 v64, v73, v133, -v64
	v_fmac_f32_e32 v65, v74, v133
	v_fma_f32 v115, v129, v137, -v115
	v_fmac_f32_e32 v116, v130, v137
	;; [unrolled: 2-line block ×6, first 2 shown]
	ds_write2_b64 v69, v[64:65], v[115:116] offset0:45 offset1:162
	ds_write2_b64 v117, v[82:83], v[135:136] offset0:117 offset1:234
	;; [unrolled: 1-line block ×4, first 2 shown]
	s_and_saveexec_b32 s2, vcc_lo
	s_cbranch_execz .LBB0_17
; %bb.16:
	v_add_co_u32 v64, s1, 0x800, v60
	v_add_co_ci_u32_e64 v65, s1, 0, v61, s1
	v_add_co_u32 v68, s1, 0x1800, v60
	v_add_co_ci_u32_e64 v69, s1, 0, v61, s1
	;; [unrolled: 2-line block ×3, first 2 shown]
	s_clause 0x2
	global_load_dwordx2 v[64:65], v[64:65], off offset:760
	global_load_dwordx2 v[68:69], v[68:69], off offset:96
	;; [unrolled: 1-line block ×3, first 2 shown]
	ds_read_b64 v[70:71], v117 offset:2808
	ds_read_b64 v[72:73], v117 offset:6240
	;; [unrolled: 1-line block ×3, first 2 shown]
	s_waitcnt vmcnt(2) lgkmcnt(2)
	v_mul_f32_e32 v77, v71, v65
	v_mul_f32_e32 v78, v70, v65
	s_waitcnt vmcnt(1) lgkmcnt(1)
	v_mul_f32_e32 v79, v73, v69
	v_mul_f32_e32 v65, v72, v69
	;; [unrolled: 3-line block ×3, first 2 shown]
	v_fma_f32 v77, v70, v64, -v77
	v_fmac_f32_e32 v78, v71, v64
	v_fma_f32 v64, v72, v68, -v79
	v_fmac_f32_e32 v65, v73, v68
	v_fma_f32 v68, v74, v60, -v80
	v_fmac_f32_e32 v69, v75, v60
	ds_write_b64 v117, v[77:78] offset:2808
	ds_write_b64 v117, v[64:65] offset:6240
	;; [unrolled: 1-line block ×3, first 2 shown]
.LBB0_17:
	s_or_b32 exec_lo, exec_lo, s2
	s_waitcnt lgkmcnt(0)
	s_barrier
	buffer_gl0_inv
	ds_read2_b64 v[72:75], v117 offset1:117
	ds_read2_b64 v[68:71], v63 offset0:42 offset1:237
	ds_read2_b64 v[62:65], v62 offset0:90 offset1:207
	;; [unrolled: 1-line block ×3, first 2 shown]
	ds_read_b64 v[115:116], v117 offset:8736
	s_and_saveexec_b32 s1, vcc_lo
	s_cbranch_execz .LBB0_19
; %bb.18:
	ds_read_b64 v[66:67], v117 offset:2808
	ds_read_b64 v[113:114], v117 offset:6240
	;; [unrolled: 1-line block ×3, first 2 shown]
.LBB0_19:
	s_or_b32 exec_lo, exec_lo, s1
	s_waitcnt lgkmcnt(2)
	v_add_f32_e32 v77, v71, v63
	v_add_f32_e32 v60, v70, v62
	;; [unrolled: 1-line block ×3, first 2 shown]
	v_sub_f32_e32 v78, v71, v63
	v_add_f32_e32 v71, v73, v71
	v_sub_f32_e32 v70, v70, v62
	v_fma_f32 v77, -0.5, v77, v73
	v_fma_f32 v76, -0.5, v60, v72
	v_add_f32_e32 v60, v61, v62
	v_add_f32_e32 v61, v71, v63
	s_waitcnt lgkmcnt(1)
	v_add_f32_e32 v72, v74, v79
	v_fmamk_f32 v63, v70, 0x3f5db3d7, v77
	v_fmac_f32_e32 v77, 0xbf5db3d7, v70
	v_add_f32_e32 v70, v80, v65
	v_fmamk_f32 v62, v78, 0xbf5db3d7, v76
	v_fmac_f32_e32 v76, 0x3f5db3d7, v78
	v_add_f32_e32 v71, v79, v64
	v_add_f32_e32 v78, v72, v64
	v_add_f32_e32 v73, v75, v80
	v_fmac_f32_e32 v75, -0.5, v70
	v_sub_f32_e32 v64, v79, v64
	v_fma_f32 v74, -0.5, v71, v74
	v_sub_f32_e32 v71, v80, v65
	v_add_f32_e32 v79, v73, v65
	s_waitcnt lgkmcnt(0)
	v_add_f32_e32 v65, v81, v115
	v_fmamk_f32 v73, v64, 0x3f5db3d7, v75
	v_add_f32_e32 v70, v68, v81
	v_fmac_f32_e32 v75, 0xbf5db3d7, v64
	v_add_f32_e32 v64, v82, v116
	v_fma_f32 v68, -0.5, v65, v68
	v_sub_f32_e32 v65, v82, v116
	v_add_f32_e32 v80, v70, v115
	v_add_f32_e32 v70, v69, v82
	v_fmac_f32_e32 v69, -0.5, v64
	v_sub_f32_e32 v64, v81, v115
	v_fmamk_f32 v82, v65, 0xbf5db3d7, v68
	v_fmac_f32_e32 v68, 0x3f5db3d7, v65
	v_add_f32_e32 v65, v113, v111
	v_fmamk_f32 v72, v71, 0xbf5db3d7, v74
	v_fmamk_f32 v83, v64, 0x3f5db3d7, v69
	v_fmac_f32_e32 v69, 0xbf5db3d7, v64
	v_add_f32_e32 v64, v114, v112
	v_fmac_f32_e32 v74, 0x3f5db3d7, v71
	v_add_f32_e32 v81, v70, v116
	v_add_f32_e32 v70, v66, v113
	v_fmac_f32_e32 v66, -0.5, v65
	v_sub_f32_e32 v65, v114, v112
	v_add_f32_e32 v71, v67, v114
	v_fmac_f32_e32 v67, -0.5, v64
	v_sub_f32_e32 v113, v113, v111
	v_add_f32_e32 v70, v70, v111
	v_fmamk_f32 v64, v65, 0xbf5db3d7, v66
	v_fmac_f32_e32 v66, 0x3f5db3d7, v65
	v_add_f32_e32 v71, v71, v112
	v_fmamk_f32 v65, v113, 0x3f5db3d7, v67
	v_fmac_f32_e32 v67, 0xbf5db3d7, v113
	s_barrier
	buffer_gl0_inv
	ds_write2_b64 v122, v[60:61], v[62:63] offset1:1
	ds_write_b64 v122, v[76:77] offset:16
	ds_write2_b64 v124, v[78:79], v[72:73] offset1:1
	ds_write_b64 v124, v[74:75] offset:16
	;; [unrolled: 2-line block ×3, first 2 shown]
	s_and_saveexec_b32 s1, vcc_lo
	s_cbranch_execz .LBB0_21
; %bb.20:
	v_lshlrev_b32_e32 v111, 3, v123
	ds_write2_b64 v111, v[70:71], v[64:65] offset1:1
	ds_write_b64 v111, v[66:67] offset:16
.LBB0_21:
	s_or_b32 exec_lo, exec_lo, s1
	s_waitcnt lgkmcnt(0)
	s_barrier
	buffer_gl0_inv
	s_and_saveexec_b32 s1, s0
	s_cbranch_execz .LBB0_23
; %bb.22:
	v_add_nc_u32_e32 v60, 0x1800, v117
	v_add_nc_u32_e32 v61, 0x1c00, v117
	;; [unrolled: 1-line block ×4, first 2 shown]
	ds_read2_b64 v[68:71], v60 offset0:24 offset1:123
	v_add_nc_u32_e32 v60, 0x400, v117
	ds_read2_b64 v[64:67], v61 offset0:94 offset1:193
	ds_read2_b64 v[72:75], v62 offset0:140 offset1:239
	;; [unrolled: 1-line block ×3, first 2 shown]
	ds_read2_b64 v[60:63], v117 offset1:99
	ds_read_b64 v[109:110], v117 offset:9504
	ds_read2_b64 v[80:83], v80 offset0:82 offset1:181
.LBB0_23:
	s_or_b32 exec_lo, exec_lo, s1
	s_waitcnt lgkmcnt(3)
	v_mul_f32_e32 v112, v23, v77
	v_mul_f32_e32 v114, v23, v76
	;; [unrolled: 1-line block ×4, first 2 shown]
	s_waitcnt lgkmcnt(2)
	v_mul_f32_e32 v111, v21, v63
	v_fmac_f32_e32 v112, v22, v76
	v_mul_f32_e32 v21, v21, v62
	v_fmac_f32_e32 v23, v16, v78
	v_fma_f32 v76, v16, v79, -v17
	v_mul_f32_e32 v16, v19, v72
	v_fmac_f32_e32 v111, v20, v62
	v_mul_f32_e32 v62, v19, v73
	v_fma_f32 v77, v22, v77, -v114
	v_mul_f32_e32 v22, v13, v75
	v_mul_f32_e32 v17, v13, v74
	s_waitcnt lgkmcnt(0)
	v_mul_f32_e32 v13, v15, v81
	v_fma_f32 v73, v18, v73, -v16
	v_mul_f32_e32 v16, v15, v80
	v_mul_f32_e32 v15, v1, v83
	;; [unrolled: 1-line block ×3, first 2 shown]
	v_fmac_f32_e32 v22, v12, v74
	v_fma_f32 v74, v12, v75, -v17
	v_fma_f32 v113, v20, v63, -v21
	v_fmac_f32_e32 v15, v0, v82
	v_fma_f32 v75, v0, v83, -v1
	v_mul_f32_e32 v0, v7, v109
	v_mul_f32_e32 v63, v3, v69
	;; [unrolled: 1-line block ×6, first 2 shown]
	v_fma_f32 v9, v6, v110, -v0
	v_fmac_f32_e32 v13, v14, v80
	v_fmac_f32_e32 v63, v2, v68
	v_fma_f32 v68, v2, v69, -v3
	v_mul_f32_e32 v0, v11, v64
	v_fma_f32 v69, v8, v71, -v1
	v_fmac_f32_e32 v7, v6, v109
	v_sub_f32_e32 v71, v113, v9
	v_add_f32_e32 v80, v9, v113
	v_fmac_f32_e32 v62, v18, v72
	v_fma_f32 v72, v14, v81, -v16
	v_fmac_f32_e32 v12, v8, v70
	v_mul_f32_e32 v14, v11, v65
	v_fma_f32 v8, v10, v65, -v0
	v_add_f32_e32 v0, v7, v111
	v_mul_f32_e32 v81, 0xbf52af12, v71
	v_mul_f32_e32 v2, v5, v66
	v_sub_f32_e32 v1, v111, v7
	v_mul_f32_e32 v109, 0x3f116cb1, v80
	v_fmac_f32_e32 v14, v10, v64
	v_mul_f32_e32 v6, v5, v67
	v_fma_f32 v3, 0x3f116cb1, v0, -v81
	v_fma_f32 v10, v4, v67, -v2
	v_mul_f32_e32 v121, 0xbf7e222b, v71
	v_fmamk_f32 v2, v1, 0xbf52af12, v109
	v_mul_f32_e32 v135, 0xbf6f5d39, v71
	v_fmac_f32_e32 v6, v4, v66
	v_add_f32_e32 v4, v60, v3
	v_fma_f32 v3, 0x3df6dbef, v0, -v121
	v_add_f32_e32 v11, v61, v2
	v_mul_f32_e32 v142, 0xbeb58ec6, v80
	v_fma_f32 v2, 0xbeb58ec6, v0, -v135
	v_sub_f32_e32 v78, v77, v10
	v_mul_f32_e32 v130, 0x3df6dbef, v80
	v_add_f32_e32 v16, v60, v3
	v_fmamk_f32 v3, v1, 0xbf6f5d39, v142
	v_add_f32_e32 v17, v60, v2
	v_add_f32_e32 v83, v10, v77
	;; [unrolled: 1-line block ×3, first 2 shown]
	v_mul_f32_e32 v114, 0xbf6f5d39, v78
	v_fmamk_f32 v5, v1, 0xbf7e222b, v130
	v_add_f32_e32 v18, v61, v3
	v_sub_f32_e32 v3, v112, v6
	v_mul_f32_e32 v122, 0xbeb58ec6, v83
	v_mul_f32_e32 v133, 0xbe750f2a, v78
	v_fma_f32 v19, 0xbeb58ec6, v2, -v114
	v_mul_f32_e32 v136, 0xbf788fa5, v83
	v_add_f32_e32 v5, v61, v5
	v_mul_f32_e32 v143, 0x3f29c268, v78
	v_fmamk_f32 v20, v3, 0xbf6f5d39, v122
	v_fma_f32 v21, 0xbf788fa5, v2, -v133
	v_add_f32_e32 v19, v19, v4
	v_fmamk_f32 v4, v3, 0xbe750f2a, v136
	v_mul_f32_e32 v149, 0xbf3f9e67, v83
	v_sub_f32_e32 v79, v76, v8
	v_add_f32_e32 v115, v8, v76
	v_fma_f32 v64, 0xbf3f9e67, v2, -v143
	v_add_f32_e32 v11, v20, v11
	v_add_f32_e32 v16, v21, v16
	;; [unrolled: 1-line block ×3, first 2 shown]
	v_fmamk_f32 v21, v3, 0x3f29c268, v149
	v_add_f32_e32 v4, v14, v23
	v_sub_f32_e32 v5, v23, v14
	v_mul_f32_e32 v123, 0xbe750f2a, v79
	v_mul_f32_e32 v131, 0xbf788fa5, v115
	v_add_f32_e32 v17, v64, v17
	v_add_f32_e32 v18, v21, v18
	v_mul_f32_e32 v141, 0xbeb58ec6, v115
	v_fma_f32 v21, 0xbf788fa5, v4, -v123
	v_fmamk_f32 v64, v5, 0xbe750f2a, v131
	v_add_f32_e32 v129, v69, v73
	v_mul_f32_e32 v139, 0x3f6f5d39, v79
	v_mul_f32_e32 v147, 0x3eedf032, v79
	v_fmamk_f32 v66, v5, 0x3f6f5d39, v141
	v_add_f32_e32 v19, v21, v19
	v_add_f32_e32 v21, v64, v11
	v_sub_f32_e32 v64, v62, v12
	v_mul_f32_e32 v148, 0x3f62ad3f, v129
	v_fma_f32 v65, 0xbeb58ec6, v4, -v139
	v_fma_f32 v11, 0x3f62ad3f, v4, -v147
	v_add_f32_e32 v20, v66, v20
	v_mul_f32_e32 v154, 0x3f62ad3f, v115
	v_sub_f32_e32 v82, v73, v69
	v_fmamk_f32 v110, v64, 0x3eedf032, v148
	v_add_f32_e32 v16, v65, v16
	v_add_f32_e32 v17, v11, v17
	;; [unrolled: 1-line block ×3, first 2 shown]
	v_mul_f32_e32 v134, 0x3f29c268, v82
	v_mul_f32_e32 v137, 0xbf3f9e67, v129
	v_fmamk_f32 v65, v5, 0x3eedf032, v154
	v_add_f32_e32 v20, v110, v20
	v_sub_f32_e32 v110, v74, v68
	v_mul_f32_e32 v144, 0x3eedf032, v82
	v_fma_f32 v66, 0xbf3f9e67, v11, -v134
	v_fmamk_f32 v67, v64, 0x3f29c268, v137
	v_add_f32_e32 v18, v65, v18
	v_mul_f32_e32 v151, 0xbf7e222b, v82
	v_add_f32_e32 v116, v68, v74
	v_add_f32_e32 v65, v63, v22
	v_mul_f32_e32 v138, 0x3f7e222b, v110
	v_fma_f32 v70, 0x3f62ad3f, v11, -v144
	v_add_f32_e32 v19, v66, v19
	v_add_f32_e32 v21, v67, v21
	v_mul_f32_e32 v157, 0x3df6dbef, v129
	v_sub_f32_e32 v66, v22, v63
	v_mul_f32_e32 v140, 0x3df6dbef, v116
	v_fma_f32 v67, 0x3df6dbef, v11, -v151
	v_mul_f32_e32 v150, 0xbf52af12, v110
	v_fma_f32 v124, 0x3df6dbef, v65, -v138
	v_add_f32_e32 v16, v70, v16
	v_fmamk_f32 v70, v64, 0xbf7e222b, v157
	v_fmamk_f32 v132, v66, 0x3f7e222b, v140
	v_add_f32_e32 v17, v67, v17
	v_fma_f32 v67, 0x3f116cb1, v65, -v150
	v_add_f32_e32 v19, v124, v19
	v_mul_f32_e32 v152, 0x3f116cb1, v116
	v_sub_f32_e32 v124, v72, v75
	v_mul_f32_e32 v156, 0x3e750f2a, v110
	v_mul_f32_e32 v159, 0xbf788fa5, v116
	v_add_f32_e32 v18, v70, v18
	v_add_f32_e32 v21, v132, v21
	;; [unrolled: 1-line block ×3, first 2 shown]
	v_fmamk_f32 v70, v66, 0xbf52af12, v152
	v_add_f32_e32 v67, v15, v13
	v_mul_f32_e32 v145, 0x3eedf032, v124
	v_fma_f32 v146, 0xbf788fa5, v65, -v156
	v_fmamk_f32 v153, v66, 0x3e750f2a, v159
	v_add_f32_e32 v132, v75, v72
	v_add_f32_e32 v161, v70, v20
	v_fma_f32 v20, 0x3f62ad3f, v67, -v145
	v_add_f32_e32 v17, v146, v17
	v_add_f32_e32 v162, v153, v18
	v_sub_f32_e32 v70, v13, v15
	v_mul_f32_e32 v146, 0x3f62ad3f, v132
	v_mul_f32_e32 v153, 0xbf29c268, v124
	v_mul_f32_e32 v155, 0xbf3f9e67, v132
	v_mul_f32_e32 v158, 0x3f52af12, v124
	v_mul_f32_e32 v160, 0x3f116cb1, v132
	v_add_f32_e32 v18, v20, v19
	v_fmamk_f32 v19, v70, 0x3eedf032, v146
	v_fma_f32 v20, 0xbf3f9e67, v67, -v153
	v_fmamk_f32 v163, v70, 0xbf29c268, v155
	v_fma_f32 v164, 0x3f116cb1, v67, -v158
	v_fmamk_f32 v165, v70, 0x3f52af12, v160
	v_add_f32_e32 v19, v19, v21
	v_add_f32_e32 v20, v20, v16
	;; [unrolled: 1-line block ×5, first 2 shown]
	s_barrier
	buffer_gl0_inv
	s_and_saveexec_b32 s1, s0
	s_cbranch_execz .LBB0_25
; %bb.24:
	v_mul_f32_e32 v164, 0xbf6f5d39, v1
	v_mul_f32_e32 v174, 0x3f29c268, v3
	;; [unrolled: 1-line block ×5, first 2 shown]
	v_sub_f32_e32 v142, v142, v164
	v_sub_f32_e32 v149, v149, v174
	v_mul_f32_e32 v195, 0x3e750f2a, v66
	v_mul_f32_e32 v167, 0x3df6dbef, v0
	;; [unrolled: 1-line block ×3, first 2 shown]
	v_add_f32_e32 v142, v61, v142
	v_sub_f32_e32 v130, v130, v168
	v_mul_f32_e32 v171, 0xbf788fa5, v2
	v_mul_f32_e32 v178, 0x3f6f5d39, v5
	;; [unrolled: 1-line block ×3, first 2 shown]
	v_add_f32_e32 v142, v149, v142
	v_sub_f32_e32 v149, v154, v180
	v_add_f32_e32 v130, v61, v130
	v_add_f32_e32 v121, v167, v121
	v_mul_f32_e32 v177, 0xbeb58ec6, v4
	v_mul_f32_e32 v184, 0x3eedf032, v64
	v_add_f32_e32 v142, v149, v142
	v_sub_f32_e32 v149, v157, v187
	v_fmamk_f32 v161, v1, 0x3e750f2a, v185
	v_mul_f32_e32 v190, 0x3f62ad3f, v83
	v_sub_f32_e32 v141, v141, v178
	v_add_f32_e32 v121, v60, v121
	v_add_f32_e32 v142, v149, v142
	v_sub_f32_e32 v149, v159, v195
	v_add_f32_e32 v133, v171, v133
	v_mul_f32_e32 v166, 0xbf52af12, v1
	v_mul_f32_e32 v183, 0x3f62ad3f, v11
	;; [unrolled: 1-line block ×3, first 2 shown]
	v_add_f32_e32 v142, v149, v142
	v_sub_f32_e32 v149, v136, v172
	v_add_f32_e32 v161, v61, v161
	v_fmamk_f32 v162, v3, 0xbeedf032, v190
	v_mul_f32_e32 v194, 0xbf3f9e67, v115
	v_add_f32_e32 v121, v133, v121
	v_add_f32_e32 v130, v149, v130
	;; [unrolled: 1-line block ×3, first 2 shown]
	v_mul_f32_e32 v165, 0x3f116cb1, v0
	v_mul_f32_e32 v170, 0xbf6f5d39, v3
	;; [unrolled: 1-line block ×3, first 2 shown]
	v_add_f32_e32 v130, v141, v130
	v_sub_f32_e32 v141, v148, v184
	v_add_f32_e32 v161, v162, v161
	v_fmamk_f32 v162, v5, 0x3f29c268, v194
	v_mul_f32_e32 v198, 0x3f116cb1, v129
	v_mul_f32_e32 v200, 0xbf29c268, v70
	;; [unrolled: 1-line block ×3, first 2 shown]
	v_add_f32_e32 v130, v141, v130
	v_sub_f32_e32 v139, v152, v192
	v_sub_f32_e32 v109, v109, v166
	v_add_f32_e32 v121, v133, v121
	v_add_f32_e32 v133, v183, v144
	v_mul_f32_e32 v169, 0xbeb58ec6, v2
	v_mul_f32_e32 v176, 0xbe750f2a, v5
	v_add_f32_e32 v161, v162, v161
	v_fmamk_f32 v162, v64, 0xbf52af12, v198
	v_mul_f32_e32 v202, 0xbeb58ec6, v116
	v_fmamk_f32 v204, v0, 0xbf788fa5, v201
	v_mul_f32_e32 v205, 0x3eedf032, v78
	v_add_f32_e32 v130, v139, v130
	v_sub_f32_e32 v139, v155, v200
	v_add_f32_e32 v109, v61, v109
	v_sub_f32_e32 v141, v122, v170
	v_add_f32_e32 v121, v133, v121
	v_add_f32_e32 v133, v191, v150
	;; [unrolled: 1-line block ×3, first 2 shown]
	v_mul_f32_e32 v182, 0x3f29c268, v64
	v_add_f32_e32 v161, v162, v161
	v_fmamk_f32 v162, v66, 0x3f6f5d39, v202
	v_add_f32_e32 v204, v60, v204
	v_fmamk_f32 v207, v2, 0x3f62ad3f, v205
	v_mul_f32_e32 v208, 0xbf29c268, v79
	v_mul_f32_e32 v210, 0xbf3f9e67, v80
	v_add_f32_e32 v122, v139, v130
	v_add_f32_e32 v109, v141, v109
	v_sub_f32_e32 v130, v131, v176
	v_add_f32_e32 v121, v133, v121
	v_add_f32_e32 v81, v60, v81
	;; [unrolled: 1-line block ×3, first 2 shown]
	v_mul_f32_e32 v133, 0x3f62ad3f, v80
	v_mul_f32_e32 v175, 0xbf788fa5, v4
	;; [unrolled: 1-line block ×3, first 2 shown]
	v_add_f32_e32 v161, v162, v161
	v_mul_f32_e32 v209, 0x3df6dbef, v132
	v_add_f32_e32 v162, v207, v204
	v_fmamk_f32 v204, v4, 0xbf3f9e67, v208
	v_mul_f32_e32 v207, 0x3f52af12, v82
	v_fmamk_f32 v212, v1, 0x3f29c268, v210
	v_mul_f32_e32 v213, 0x3df6dbef, v83
	v_add_f32_e32 v109, v130, v109
	v_sub_f32_e32 v130, v137, v182
	v_add_f32_e32 v80, v114, v81
	v_fmamk_f32 v114, v1, 0x3eedf032, v133
	v_mul_f32_e32 v83, 0x3f116cb1, v83
	v_mul_f32_e32 v181, 0xbf3f9e67, v11
	v_fmamk_f32 v211, v70, 0xbf7e222b, v209
	v_add_f32_e32 v162, v204, v162
	v_fmamk_f32 v204, v11, 0x3f116cb1, v207
	v_mul_f32_e32 v214, 0xbf6f5d39, v110
	v_add_f32_e32 v212, v61, v212
	v_fmamk_f32 v215, v3, 0xbf7e222b, v213
	v_mul_f32_e32 v216, 0x3f116cb1, v115
	v_add_f32_e32 v81, v175, v123
	v_add_f32_e32 v109, v130, v109
	v_sub_f32_e32 v123, v140, v189
	v_add_f32_e32 v114, v61, v114
	v_fmamk_f32 v130, v3, 0x3f52af12, v83
	v_mul_f32_e32 v115, 0x3df6dbef, v115
	v_mul_f32_e32 v188, 0x3df6dbef, v65
	;; [unrolled: 1-line block ×3, first 2 shown]
	v_add_f32_e32 v204, v204, v162
	v_fmamk_f32 v217, v65, 0xbeb58ec6, v214
	v_add_f32_e32 v162, v211, v161
	v_add_f32_e32 v161, v215, v212
	v_mul_f32_e32 v212, 0xbf788fa5, v129
	v_add_f32_e32 v80, v81, v80
	v_add_f32_e32 v81, v181, v134
	;; [unrolled: 1-line block ×4, first 2 shown]
	v_fmamk_f32 v123, v5, 0x3f7e222b, v115
	v_mul_f32_e32 v129, 0xbeb58ec6, v129
	v_add_f32_e32 v113, v113, v61
	v_fmamk_f32 v211, v5, 0x3f52af12, v216
	v_add_f32_e32 v204, v217, v204
	v_mul_f32_e32 v215, 0x3f7e222b, v124
	v_mul_f32_e32 v217, 0xbf29c268, v71
	v_add_f32_e32 v80, v81, v80
	v_add_f32_e32 v81, v188, v138
	v_sub_f32_e32 v130, v146, v197
	v_add_f32_e32 v114, v123, v114
	v_fmamk_f32 v123, v64, 0x3f6f5d39, v129
	v_mul_f32_e32 v71, 0xbeedf032, v71
	v_add_f32_e32 v77, v77, v113
	v_add_f32_e32 v111, v60, v111
	;; [unrolled: 1-line block ×3, first 2 shown]
	v_fmamk_f32 v211, v64, 0xbe750f2a, v212
	v_fmamk_f32 v219, v67, 0x3df6dbef, v215
	;; [unrolled: 1-line block ×3, first 2 shown]
	v_mul_f32_e32 v221, 0x3f7e222b, v78
	v_add_f32_e32 v80, v81, v80
	v_add_f32_e32 v81, v130, v109
	;; [unrolled: 1-line block ×3, first 2 shown]
	v_fmamk_f32 v114, v0, 0x3f62ad3f, v71
	v_mul_f32_e32 v78, 0xbf52af12, v78
	v_add_f32_e32 v76, v76, v77
	v_add_f32_e32 v77, v112, v111
	;; [unrolled: 1-line block ×5, first 2 shown]
	v_fmamk_f32 v219, v2, 0x3df6dbef, v221
	v_mul_f32_e32 v220, 0xbf52af12, v79
	v_add_f32_e32 v114, v60, v114
	v_fmamk_f32 v111, v2, 0x3f116cb1, v78
	v_mul_f32_e32 v79, 0xbf7e222b, v79
	v_add_f32_e32 v73, v73, v76
	v_add_f32_e32 v23, v23, v77
	;; [unrolled: 1-line block ×3, first 2 shown]
	v_mul_f32_e32 v219, 0x3e750f2a, v82
	v_add_f32_e32 v76, v111, v114
	v_fmamk_f32 v77, v4, 0x3df6dbef, v79
	v_mul_f32_e32 v82, 0xbf6f5d39, v82
	v_add_f32_e32 v73, v74, v73
	v_add_f32_e32 v23, v62, v23
	v_mul_f32_e32 v113, 0xbf3f9e67, v116
	v_add_f32_e32 v74, v77, v76
	v_fmamk_f32 v76, v11, 0xbeb58ec6, v82
	v_add_f32_e32 v72, v72, v73
	v_add_f32_e32 v22, v22, v23
	v_mul_f32_e32 v73, 0xbf29c268, v110
	v_fmamk_f32 v112, v66, 0x3f29c268, v113
	v_mul_f32_e32 v77, 0xbf788fa5, v132
	v_add_f32_e32 v23, v76, v74
	v_add_f32_e32 v72, v75, v72
	;; [unrolled: 1-line block ×3, first 2 shown]
	v_fmamk_f32 v22, v65, 0xbf3f9e67, v73
	v_mul_f32_e32 v74, 0xbe750f2a, v124
	v_add_f32_e32 v62, v112, v109
	v_fmamk_f32 v75, v70, 0x3e750f2a, v77
	v_add_f32_e32 v68, v68, v72
	v_add_f32_e32 v13, v15, v13
	;; [unrolled: 1-line block ×3, first 2 shown]
	v_fmamk_f32 v22, v67, 0xbf788fa5, v74
	v_add_f32_e32 v23, v75, v62
	v_add_f32_e32 v62, v69, v68
	v_add_f32_e32 v13, v63, v13
	v_fmac_f32_e32 v185, 0xbe750f2a, v1
	v_add_f32_e32 v22, v22, v15
	v_fma_f32 v15, 0xbf788fa5, v0, -v201
	v_add_f32_e32 v8, v8, v62
	v_add_f32_e32 v12, v12, v13
	v_add_f32_e32 v13, v61, v185
	v_fmac_f32_e32 v190, 0x3eedf032, v3
	v_add_f32_e32 v15, v60, v15
	v_fma_f32 v62, 0x3f62ad3f, v2, -v205
	v_add_f32_e32 v8, v10, v8
	v_add_f32_e32 v10, v14, v12
	v_add_f32_e32 v12, v190, v13
	v_fmac_f32_e32 v194, 0xbf29c268, v5
	v_add_f32_e32 v13, v62, v15
	v_fma_f32 v14, 0xbf3f9e67, v4, -v208
	v_add_f32_e32 v8, v9, v8
	v_add_f32_e32 v6, v6, v10
	v_add_f32_e32 v9, v194, v12
	v_fmac_f32_e32 v198, 0x3f52af12, v64
	v_add_f32_e32 v10, v14, v13
	v_fma_f32 v12, 0x3f116cb1, v11, -v207
	v_fmac_f32_e32 v210, 0xbf29c268, v1
	v_add_f32_e32 v7, v7, v6
	v_add_f32_e32 v6, v198, v9
	v_fmac_f32_e32 v202, 0xbf6f5d39, v66
	v_add_f32_e32 v9, v12, v10
	v_add_f32_e32 v12, v61, v210
	v_fmac_f32_e32 v213, 0x3f7e222b, v3
	v_fma_f32 v13, 0xbf3f9e67, v0, -v217
	v_fma_f32 v10, 0xbeb58ec6, v65, -v214
	v_add_f32_e32 v6, v202, v6
	v_fmac_f32_e32 v209, 0x3f7e222b, v70
	v_add_f32_e32 v12, v213, v12
	v_fmac_f32_e32 v216, 0xbf52af12, v5
	v_add_f32_e32 v13, v60, v13
	v_fma_f32 v15, 0x3df6dbef, v2, -v221
	v_mul_f32_e32 v163, 0xbeb58ec6, v0
	v_add_f32_e32 v9, v10, v9
	v_add_f32_e32 v10, v209, v6
	v_add_f32_e32 v6, v216, v12
	v_fmac_f32_e32 v212, 0x3e750f2a, v64
	v_add_f32_e32 v12, v15, v13
	v_fma_f32 v13, 0x3f116cb1, v4, -v220
	v_fmac_f32_e32 v133, 0xbeedf032, v1
	v_mul_f32_e32 v173, 0xbf3f9e67, v2
	v_add_f32_e32 v135, v163, v135
	v_add_f32_e32 v1, v212, v6
	v_fma_f32 v0, 0x3f62ad3f, v0, -v71
	v_add_f32_e32 v6, v13, v12
	v_add_f32_e32 v12, v61, v133
	v_fmac_f32_e32 v83, 0xbf52af12, v3
	v_mul_f32_e32 v179, 0x3f62ad3f, v4
	v_add_f32_e32 v135, v60, v135
	v_add_f32_e32 v143, v173, v143
	v_mul_f32_e32 v224, 0x3eedf032, v110
	v_fma_f32 v3, 0xbf788fa5, v11, -v219
	v_add_f32_e32 v0, v60, v0
	v_fma_f32 v2, 0x3f116cb1, v2, -v78
	v_add_f32_e32 v12, v83, v12
	v_fmac_f32_e32 v115, 0xbf7e222b, v5
	v_mul_f32_e32 v186, 0x3df6dbef, v11
	v_mul_f32_e32 v206, 0x3f52af12, v70
	;; [unrolled: 1-line block ×3, first 2 shown]
	v_fmamk_f32 v204, v4, 0x3f116cb1, v220
	v_add_f32_e32 v135, v143, v135
	v_add_f32_e32 v143, v179, v147
	;; [unrolled: 1-line block ×4, first 2 shown]
	v_fma_f32 v2, 0x3df6dbef, v4, -v79
	v_fma_f32 v4, 0x3f62ad3f, v65, -v224
	v_add_f32_e32 v5, v115, v12
	v_fmac_f32_e32 v129, 0xbf6f5d39, v64
	v_mul_f32_e32 v199, 0xbf3f9e67, v67
	v_mul_f32_e32 v193, 0xbf788fa5, v65
	v_fmamk_f32 v222, v66, 0xbeedf032, v218
	v_add_f32_e32 v174, v204, v164
	v_fmamk_f32 v204, v11, 0xbf788fa5, v219
	v_sub_f32_e32 v147, v160, v206
	v_add_f32_e32 v135, v143, v135
	v_add_f32_e32 v143, v186, v151
	;; [unrolled: 1-line block ×3, first 2 shown]
	v_fma_f32 v2, 0xbeb58ec6, v11, -v82
	v_add_f32_e32 v3, v4, v3
	v_add_f32_e32 v4, v129, v5
	v_mov_b32_e32 v5, 39
	v_mul_f32_e32 v196, 0x3f62ad3f, v67
	v_add_f32_e32 v131, v199, v153
	v_mul_f32_e32 v203, 0x3f116cb1, v67
	v_add_f32_e32 v211, v222, v211
	;; [unrolled: 2-line block ×3, first 2 shown]
	v_fmamk_f32 v174, v65, 0x3f62ad3f, v224
	v_mul_f32_e32 v180, 0xbf6f5d39, v124
	v_add_f32_e32 v136, v147, v142
	v_add_f32_e32 v135, v143, v135
	;; [unrolled: 1-line block ×3, first 2 shown]
	v_fmac_f32_e32 v218, 0x3eedf032, v66
	v_fmac_f32_e32 v113, 0xbf29c268, v66
	v_add_f32_e32 v0, v2, v0
	v_fma_f32 v2, 0xbf3f9e67, v65, -v73
	v_mul_u32_u24_sdwa v5, v120, v5 dst_sel:DWORD dst_unused:UNUSED_PAD src0_sel:WORD_0 src1_sel:DWORD
	v_add_f32_e32 v121, v131, v121
	v_add_f32_e32 v131, v196, v145
	v_fmamk_f32 v223, v70, 0x3f6f5d39, v222
	v_add_f32_e32 v154, v174, v154
	v_fmamk_f32 v157, v67, 0xbeb58ec6, v180
	v_add_f32_e32 v135, v142, v135
	v_add_f32_e32 v142, v203, v158
	v_fma_f32 v14, 0x3df6dbef, v67, -v215
	v_add_f32_e32 v1, v218, v1
	v_fmac_f32_e32 v222, 0xbf6f5d39, v70
	v_fma_f32 v6, 0xbeb58ec6, v67, -v180
	v_add_f32_e32 v4, v113, v4
	v_fmac_f32_e32 v77, 0xbe750f2a, v70
	v_add_f32_e32 v2, v2, v0
	v_fma_f32 v11, 0xbf788fa5, v67, -v74
	v_add_lshl_u32 v5, v5, v119, 3
	v_add_f32_e32 v80, v131, v80
	v_add_f32_e32 v164, v223, v211
	;; [unrolled: 1-line block ×9, first 2 shown]
	ds_write2_b64 v5, v[7:8], v[22:23] offset1:3
	ds_write2_b64 v5, v[80:81], v[121:122] offset0:6 offset1:9
	ds_write2_b64 v5, v[135:136], v[163:164] offset0:12 offset1:15
	;; [unrolled: 1-line block ×5, first 2 shown]
	ds_write_b64 v5, v[2:3] offset:288
.LBB0_25:
	s_or_b32 exec_lo, exec_lo, s1
	v_add_nc_u32_e32 v0, 0x600, v117
	v_add_nc_u32_e32 v8, 0x1800, v117
	v_add_nc_u32_e32 v9, 0x1000, v117
	s_waitcnt lgkmcnt(0)
	s_barrier
	buffer_gl0_inv
	ds_read2_b64 v[4:7], v117 offset1:117
	ds_read2_b64 v[0:3], v0 offset0:42 offset1:237
	ds_read2_b64 v[12:15], v8 offset0:90 offset1:207
	;; [unrolled: 1-line block ×3, first 2 shown]
	ds_read_b64 v[22:23], v117 offset:8736
	s_and_saveexec_b32 s0, vcc_lo
	s_cbranch_execz .LBB0_27
; %bb.26:
	ds_read_b64 v[16:17], v117 offset:2808
	ds_read_b64 v[20:21], v117 offset:6240
	;; [unrolled: 1-line block ×3, first 2 shown]
.LBB0_27:
	s_or_b32 exec_lo, exec_lo, s0
	s_waitcnt lgkmcnt(3)
	v_mul_f32_e32 v60, v49, v3
	v_mul_f32_e32 v49, v49, v2
	s_waitcnt lgkmcnt(2)
	v_mul_f32_e32 v61, v51, v13
	v_mul_f32_e32 v51, v51, v12
	s_waitcnt lgkmcnt(0)
	v_fmac_f32_e32 v60, v48, v2
	v_fma_f32 v3, v48, v3, -v49
	v_mul_f32_e32 v48, v45, v9
	v_mul_f32_e32 v2, v45, v8
	v_fmac_f32_e32 v61, v50, v12
	v_fma_f32 v12, v50, v13, -v51
	v_mul_f32_e32 v13, v47, v15
	v_fmac_f32_e32 v48, v44, v8
	v_mul_f32_e32 v8, v47, v14
	v_fma_f32 v44, v44, v9, -v2
	v_mul_f32_e32 v45, v33, v11
	v_mul_f32_e32 v2, v33, v10
	v_fmac_f32_e32 v13, v46, v14
	v_fma_f32 v14, v46, v15, -v8
	v_mul_f32_e32 v8, v35, v22
	v_fmac_f32_e32 v45, v32, v10
	v_fma_f32 v32, v32, v11, -v2
	v_add_f32_e32 v2, v60, v61
	v_mul_f32_e32 v15, v35, v23
	v_add_f32_e32 v9, v4, v60
	v_fma_f32 v23, v34, v23, -v8
	v_add_f32_e32 v8, v3, v12
	v_fma_f32 v2, -0.5, v2, v4
	v_sub_f32_e32 v10, v3, v12
	v_add_f32_e32 v4, v9, v61
	v_add_f32_e32 v9, v5, v3
	v_fma_f32 v3, -0.5, v8, v5
	v_sub_f32_e32 v11, v60, v61
	v_fmamk_f32 v8, v10, 0xbf5db3d7, v2
	v_fmac_f32_e32 v2, 0x3f5db3d7, v10
	v_add_f32_e32 v10, v48, v13
	v_fmac_f32_e32 v15, v34, v22
	v_add_f32_e32 v5, v9, v12
	v_fmamk_f32 v9, v11, 0x3f5db3d7, v3
	v_add_f32_e32 v12, v6, v48
	v_fmac_f32_e32 v3, 0xbf5db3d7, v11
	v_add_f32_e32 v11, v44, v14
	v_fma_f32 v6, -0.5, v10, v6
	v_sub_f32_e32 v22, v44, v14
	v_add_f32_e32 v33, v7, v44
	v_add_f32_e32 v10, v12, v13
	v_fmac_f32_e32 v7, -0.5, v11
	v_sub_f32_e32 v34, v48, v13
	v_fmamk_f32 v12, v22, 0xbf5db3d7, v6
	v_fmac_f32_e32 v6, 0x3f5db3d7, v22
	v_add_f32_e32 v11, v33, v14
	v_add_f32_e32 v14, v45, v15
	;; [unrolled: 1-line block ×3, first 2 shown]
	v_fmamk_f32 v13, v34, 0x3f5db3d7, v7
	v_fmac_f32_e32 v7, 0xbf5db3d7, v34
	v_add_f32_e32 v33, v0, v45
	v_fma_f32 v0, -0.5, v14, v0
	v_sub_f32_e32 v34, v32, v23
	v_add_f32_e32 v32, v1, v32
	v_fmac_f32_e32 v1, -0.5, v22
	v_sub_f32_e32 v35, v45, v15
	v_add_f32_e32 v14, v33, v15
	v_fmamk_f32 v22, v34, 0xbf5db3d7, v0
	v_add_f32_e32 v15, v32, v23
	v_fmac_f32_e32 v0, 0x3f5db3d7, v34
	v_fmamk_f32 v23, v35, 0x3f5db3d7, v1
	v_fmac_f32_e32 v1, 0xbf5db3d7, v35
	s_barrier
	buffer_gl0_inv
	ds_write2_b64 v128, v[4:5], v[8:9] offset1:39
	ds_write_b64 v128, v[2:3] offset:624
	ds_write2_b64 v127, v[10:11], v[12:13] offset1:39
	ds_write_b64 v127, v[6:7] offset:624
	;; [unrolled: 2-line block ×3, first 2 shown]
	s_and_saveexec_b32 s0, vcc_lo
	s_cbranch_execz .LBB0_29
; %bb.28:
	v_mul_f32_e32 v0, v25, v20
	v_mul_f32_e32 v1, v27, v18
	v_mul_f32_e32 v2, v25, v21
	v_mul_f32_e32 v6, v27, v19
	v_mov_b32_e32 v7, 3
	v_fma_f32 v0, v24, v21, -v0
	v_fma_f32 v3, v26, v19, -v1
	v_fmac_f32_e32 v2, v24, v20
	v_fmac_f32_e32 v6, v26, v18
	v_add_f32_e32 v5, v17, v0
	v_add_f32_e32 v1, v0, v3
	v_sub_f32_e32 v9, v0, v3
	v_add_f32_e32 v4, v2, v6
	v_sub_f32_e32 v8, v2, v6
	v_add_f32_e32 v2, v16, v2
	v_fma_f32 v1, -0.5, v1, v17
	v_add_f32_e32 v3, v5, v3
	v_fma_f32 v0, -0.5, v4, v16
	v_add_f32_e32 v2, v2, v6
	v_fmamk_f32 v5, v8, 0xbf5db3d7, v1
	v_fmac_f32_e32 v1, 0x3f5db3d7, v8
	v_fmamk_f32 v4, v9, 0x3f5db3d7, v0
	v_lshlrev_b32_sdwa v6, v7, v125 dst_sel:DWORD dst_unused:UNUSED_PAD src0_sel:DWORD src1_sel:WORD_0
	v_fmac_f32_e32 v0, 0xbf5db3d7, v9
	ds_write2_b64 v6, v[2:3], v[0:1] offset1:39
	ds_write_b64 v6, v[4:5] offset:624
.LBB0_29:
	s_or_b32 exec_lo, exec_lo, s0
	s_waitcnt lgkmcnt(0)
	s_barrier
	buffer_gl0_inv
	ds_read2_b64 v[4:7], v117 offset1:117
	v_add_nc_u32_e32 v3, 0x400, v117
	v_add_nc_u32_e32 v1, 0xc00, v117
	ds_read2_b64 v[8:11], v3 offset0:106 offset1:223
	ds_read2_b64 v[12:15], v1 offset0:84 offset1:201
	v_add_nc_u32_e32 v2, 0x1400, v117
	v_add_nc_u32_e32 v0, 0x1c00, v117
	ds_read2_b64 v[16:19], v2 offset0:62 offset1:179
	ds_read_b64 v[24:25], v117 offset:9360
	ds_read2_b64 v[20:23], v0 offset0:40 offset1:157
	s_mov_b32 s2, 0x768d3a48
	s_mov_b32 s3, 0x3f4975f4
	s_mul_hi_u32 s1, s8, 0x1ad
	s_waitcnt lgkmcnt(5)
	v_mul_f32_e32 v26, v57, v7
	v_mul_f32_e32 v27, v57, v6
	v_fmac_f32_e32 v26, v56, v6
	v_fma_f32 v6, v56, v7, -v27
	s_waitcnt lgkmcnt(4)
	v_mul_f32_e32 v27, v59, v9
	v_mul_f32_e32 v7, v59, v8
	s_waitcnt lgkmcnt(3)
	v_mul_f32_e32 v34, v55, v13
	v_mul_f32_e32 v32, v53, v11
	;; [unrolled: 1-line block ×4, first 2 shown]
	v_fmac_f32_e32 v27, v58, v8
	v_fma_f32 v8, v58, v9, -v7
	v_fmac_f32_e32 v34, v54, v12
	v_add_f32_e32 v7, v4, v26
	v_add_f32_e32 v12, v5, v6
	v_mul_f32_e32 v44, v37, v15
	v_fmac_f32_e32 v32, v52, v10
	v_fma_f32 v9, v52, v11, -v33
	v_add_f32_e32 v7, v7, v27
	v_add_f32_e32 v12, v12, v8
	v_mul_f32_e32 v37, v37, v14
	v_fma_f32 v10, v54, v13, -v35
	v_fmac_f32_e32 v44, v36, v14
	s_waitcnt lgkmcnt(2)
	v_mul_f32_e32 v14, v39, v16
	v_add_f32_e32 v7, v7, v32
	v_add_f32_e32 v12, v12, v9
	v_mul_f32_e32 v11, v39, v17
	v_fma_f32 v13, v36, v15, -v37
	v_mul_f32_e32 v15, v29, v19
	v_fma_f32 v14, v38, v17, -v14
	s_waitcnt lgkmcnt(0)
	v_mul_f32_e32 v17, v31, v21
	v_add_f32_e32 v7, v7, v34
	v_add_f32_e32 v12, v12, v10
	v_fmac_f32_e32 v11, v38, v16
	v_mul_f32_e32 v16, v29, v18
	v_fmac_f32_e32 v15, v28, v18
	v_mul_f32_e32 v18, v31, v20
	v_fmac_f32_e32 v17, v30, v20
	v_add_f32_e32 v7, v7, v44
	v_add_f32_e32 v12, v12, v13
	v_mul_f32_e32 v20, v43, v24
	v_fma_f32 v16, v28, v19, -v16
	v_mul_f32_e32 v19, v41, v23
	v_fma_f32 v18, v30, v21, -v18
	v_add_f32_e32 v7, v7, v11
	v_add_f32_e32 v12, v12, v14
	v_mul_f32_e32 v21, v43, v25
	v_fma_f32 v20, v42, v25, -v20
	v_fmac_f32_e32 v19, v40, v22
	v_mul_f32_e32 v22, v41, v22
	v_add_f32_e32 v7, v7, v15
	v_add_f32_e32 v12, v12, v16
	v_fmac_f32_e32 v21, v42, v24
	v_sub_f32_e32 v24, v6, v20
	v_fma_f32 v22, v40, v23, -v22
	v_add_f32_e32 v7, v7, v17
	v_add_f32_e32 v12, v12, v18
	;; [unrolled: 1-line block ×3, first 2 shown]
	v_mul_f32_e32 v25, 0xbf0a6770, v24
	v_add_f32_e32 v28, v6, v20
	v_add_f32_e32 v6, v7, v19
	;; [unrolled: 1-line block ×3, first 2 shown]
	v_sub_f32_e32 v12, v26, v21
	v_fmamk_f32 v26, v23, 0x3f575c64, v25
	v_mul_f32_e32 v29, 0x3f575c64, v28
	v_mul_f32_e32 v30, 0x3ed4b147, v28
	v_add_f32_e32 v7, v7, v20
	v_mul_f32_e32 v35, 0xbf7d64f0, v24
	v_add_f32_e32 v20, v4, v26
	v_mul_f32_e32 v26, 0xbf68dda4, v24
	v_mul_f32_e32 v37, 0xbe11bafb, v28
	;; [unrolled: 1-line block ×6, first 2 shown]
	v_sub_f32_e32 v46, v8, v22
	v_add_f32_e32 v8, v8, v22
	v_add_f32_e32 v6, v6, v21
	v_fmamk_f32 v21, v12, 0x3f0a6770, v29
	v_fma_f32 v25, 0x3f575c64, v23, -v25
	v_fmac_f32_e32 v29, 0xbf0a6770, v12
	v_fmamk_f32 v31, v23, 0x3ed4b147, v26
	v_fmamk_f32 v33, v12, 0x3f68dda4, v30
	v_fma_f32 v26, 0x3ed4b147, v23, -v26
	v_fmac_f32_e32 v30, 0xbf68dda4, v12
	v_fmamk_f32 v36, v23, 0xbe11bafb, v35
	;; [unrolled: 4-line block ×4, first 2 shown]
	v_fmamk_f32 v45, v12, 0x3e903f40, v28
	v_add_f32_e32 v47, v27, v19
	v_mul_f32_e32 v22, 0xbf68dda4, v46
	v_fma_f32 v23, 0xbf75a155, v23, -v24
	v_fmac_f32_e32 v28, 0xbe903f40, v12
	v_sub_f32_e32 v12, v27, v19
	v_mul_f32_e32 v19, 0x3ed4b147, v8
	v_add_f32_e32 v21, v5, v21
	v_add_f32_e32 v25, v4, v25
	v_add_f32_e32 v31, v4, v31
	v_add_f32_e32 v26, v4, v26
	v_add_f32_e32 v36, v4, v36
	v_add_f32_e32 v35, v4, v35
	v_add_f32_e32 v40, v4, v40
	v_add_f32_e32 v38, v4, v38
	v_add_f32_e32 v43, v4, v43
	v_fmamk_f32 v24, v47, 0x3ed4b147, v22
	v_add_f32_e32 v4, v4, v23
	v_mul_f32_e32 v23, 0xbf4178ce, v46
	v_fmamk_f32 v27, v12, 0x3f68dda4, v19
	v_fma_f32 v22, 0x3ed4b147, v47, -v22
	v_add_f32_e32 v29, v5, v29
	v_add_f32_e32 v20, v24, v20
	v_fmac_f32_e32 v19, 0xbf68dda4, v12
	v_fmamk_f32 v24, v47, 0xbf27a4f4, v23
	v_add_f32_e32 v21, v27, v21
	v_mul_f32_e32 v27, 0xbf27a4f4, v8
	v_add_f32_e32 v22, v22, v25
	v_mul_f32_e32 v25, 0x3e903f40, v46
	v_add_f32_e32 v33, v5, v33
	v_add_f32_e32 v30, v5, v30
	;; [unrolled: 1-line block ×10, first 2 shown]
	v_fmamk_f32 v28, v12, 0x3f4178ce, v27
	v_fma_f32 v23, 0xbf27a4f4, v47, -v23
	v_fmac_f32_e32 v27, 0xbf4178ce, v12
	v_mul_f32_e32 v29, 0xbf75a155, v8
	v_fmamk_f32 v31, v47, 0xbf75a155, v25
	v_fma_f32 v25, 0xbf75a155, v47, -v25
	v_add_f32_e32 v23, v23, v26
	v_add_f32_e32 v26, v27, v30
	v_fmamk_f32 v27, v12, 0xbe903f40, v29
	v_add_f32_e32 v30, v31, v36
	v_mul_f32_e32 v31, 0x3f7d64f0, v46
	v_add_f32_e32 v25, v25, v35
	v_mul_f32_e32 v35, 0x3f0a6770, v46
	v_add_f32_e32 v28, v28, v33
	v_fmac_f32_e32 v29, 0x3e903f40, v12
	v_add_f32_e32 v27, v27, v39
	v_mul_f32_e32 v33, 0xbe11bafb, v8
	v_fmamk_f32 v36, v47, 0xbe11bafb, v31
	v_fma_f32 v31, 0xbe11bafb, v47, -v31
	v_fmamk_f32 v39, v47, 0x3f575c64, v35
	v_add_f32_e32 v29, v29, v37
	v_fmamk_f32 v37, v12, 0xbf7d64f0, v33
	v_fmac_f32_e32 v33, 0x3f7d64f0, v12
	v_mul_f32_e32 v8, 0x3f575c64, v8
	v_add_f32_e32 v31, v31, v38
	v_add_f32_e32 v38, v39, v43
	v_sub_f32_e32 v39, v9, v18
	v_add_f32_e32 v9, v9, v18
	v_add_f32_e32 v36, v36, v40
	;; [unrolled: 1-line block ×3, first 2 shown]
	v_fmamk_f32 v40, v12, 0xbf0a6770, v8
	v_fma_f32 v35, 0x3f575c64, v47, -v35
	v_add_f32_e32 v18, v32, v17
	v_mul_f32_e32 v41, 0xbf7d64f0, v39
	v_fmac_f32_e32 v8, 0x3f0a6770, v12
	v_sub_f32_e32 v12, v32, v17
	v_mul_f32_e32 v17, 0xbe11bafb, v9
	v_add_f32_e32 v32, v40, v45
	v_fmamk_f32 v40, v18, 0xbe11bafb, v41
	v_add_f32_e32 v4, v35, v4
	v_add_f32_e32 v5, v8, v5
	v_fmamk_f32 v8, v12, 0x3f7d64f0, v17
	v_mul_f32_e32 v35, 0x3e903f40, v39
	v_fmac_f32_e32 v17, 0xbf7d64f0, v12
	v_add_f32_e32 v20, v40, v20
	v_fma_f32 v40, 0xbe11bafb, v18, -v41
	v_add_f32_e32 v8, v8, v21
	v_fmamk_f32 v21, v18, 0xbf75a155, v35
	v_mul_f32_e32 v41, 0xbf75a155, v9
	v_add_f32_e32 v17, v17, v19
	v_mul_f32_e32 v19, 0x3f68dda4, v39
	v_add_f32_e32 v37, v37, v42
	v_add_f32_e32 v22, v40, v22
	;; [unrolled: 1-line block ×3, first 2 shown]
	v_fmamk_f32 v24, v12, 0xbe903f40, v41
	v_fma_f32 v35, 0xbf75a155, v18, -v35
	v_fmamk_f32 v40, v18, 0x3ed4b147, v19
	v_mul_f32_e32 v42, 0x3ed4b147, v9
	v_fma_f32 v19, 0x3ed4b147, v18, -v19
	v_add_f32_e32 v24, v24, v28
	v_add_f32_e32 v23, v35, v23
	;; [unrolled: 1-line block ×3, first 2 shown]
	v_fmamk_f32 v30, v12, 0xbf68dda4, v42
	v_mul_f32_e32 v35, 0xbf0a6770, v39
	v_mul_f32_e32 v39, 0xbf4178ce, v39
	v_fmac_f32_e32 v42, 0x3f68dda4, v12
	v_mul_f32_e32 v40, 0x3f575c64, v9
	v_add_f32_e32 v27, v30, v27
	v_fmamk_f32 v30, v18, 0x3f575c64, v35
	v_fma_f32 v35, 0x3f575c64, v18, -v35
	v_add_f32_e32 v19, v19, v25
	v_add_f32_e32 v25, v42, v29
	v_fmamk_f32 v29, v12, 0x3f0a6770, v40
	v_add_f32_e32 v30, v30, v36
	v_fmamk_f32 v36, v18, 0xbf27a4f4, v39
	v_add_f32_e32 v31, v35, v31
	v_sub_f32_e32 v35, v10, v16
	v_mul_f32_e32 v9, 0xbf27a4f4, v9
	v_add_f32_e32 v10, v10, v16
	v_add_f32_e32 v36, v36, v38
	;; [unrolled: 1-line block ×3, first 2 shown]
	v_mul_f32_e32 v16, 0xbf4178ce, v35
	v_fmac_f32_e32 v41, 0x3e903f40, v12
	v_fmac_f32_e32 v40, 0xbf0a6770, v12
	v_add_f32_e32 v29, v29, v37
	v_fmamk_f32 v37, v12, 0x3f4178ce, v9
	v_fma_f32 v18, 0xbf27a4f4, v18, -v39
	v_fmac_f32_e32 v9, 0xbf4178ce, v12
	v_sub_f32_e32 v12, v34, v15
	v_mul_f32_e32 v15, 0xbf27a4f4, v10
	v_fmamk_f32 v34, v38, 0xbf27a4f4, v16
	v_add_f32_e32 v4, v18, v4
	v_add_f32_e32 v5, v9, v5
	v_fma_f32 v16, 0xbf27a4f4, v38, -v16
	v_fmamk_f32 v9, v12, 0x3f4178ce, v15
	v_add_f32_e32 v18, v34, v20
	v_mul_f32_e32 v20, 0x3f7d64f0, v35
	v_fmac_f32_e32 v15, 0xbf4178ce, v12
	v_add_f32_e32 v26, v41, v26
	v_add_f32_e32 v8, v9, v8
	v_mul_f32_e32 v9, 0xbe11bafb, v10
	v_fmamk_f32 v34, v38, 0xbe11bafb, v20
	v_add_f32_e32 v15, v15, v17
	v_mul_f32_e32 v17, 0xbf0a6770, v35
	v_add_f32_e32 v16, v16, v22
	v_fmamk_f32 v22, v12, 0xbf7d64f0, v9
	v_add_f32_e32 v21, v34, v21
	v_fma_f32 v20, 0xbe11bafb, v38, -v20
	v_fmac_f32_e32 v9, 0x3f7d64f0, v12
	v_fmamk_f32 v34, v38, 0x3f575c64, v17
	v_add_f32_e32 v22, v22, v24
	v_mul_f32_e32 v24, 0x3f575c64, v10
	v_add_f32_e32 v20, v20, v23
	v_add_f32_e32 v23, v9, v26
	;; [unrolled: 1-line block ×3, first 2 shown]
	v_mul_f32_e32 v9, 0xbe903f40, v35
	v_fma_f32 v17, 0x3f575c64, v38, -v17
	v_mul_f32_e32 v34, 0xbf75a155, v10
	v_add_f32_e32 v33, v40, v33
	v_add_f32_e32 v32, v37, v32
	v_fmamk_f32 v28, v12, 0x3f0a6770, v24
	v_fmac_f32_e32 v24, 0xbf0a6770, v12
	v_fmamk_f32 v37, v38, 0xbf75a155, v9
	v_add_f32_e32 v17, v17, v19
	v_fmamk_f32 v19, v12, 0x3e903f40, v34
	v_mul_f32_e32 v10, 0x3ed4b147, v10
	v_fmac_f32_e32 v34, 0xbe903f40, v12
	v_add_f32_e32 v27, v28, v27
	v_add_f32_e32 v28, v24, v25
	;; [unrolled: 1-line block ×3, first 2 shown]
	v_mul_f32_e32 v25, 0x3f68dda4, v35
	v_fma_f32 v9, 0xbf75a155, v38, -v9
	v_fmamk_f32 v30, v12, 0xbf68dda4, v10
	v_sub_f32_e32 v35, v13, v14
	v_add_f32_e32 v33, v34, v33
	v_add_f32_e32 v34, v13, v14
	;; [unrolled: 1-line block ×3, first 2 shown]
	v_fmamk_f32 v29, v38, 0x3ed4b147, v25
	v_add_f32_e32 v31, v9, v31
	v_add_f32_e32 v30, v30, v32
	;; [unrolled: 1-line block ×3, first 2 shown]
	v_mul_f32_e32 v9, 0xbe903f40, v35
	v_fma_f32 v13, 0x3ed4b147, v38, -v25
	v_fmac_f32_e32 v10, 0x3f68dda4, v12
	v_sub_f32_e32 v25, v44, v11
	v_mul_f32_e32 v12, 0xbf75a155, v34
	v_add_f32_e32 v29, v29, v36
	v_fmamk_f32 v11, v32, 0xbf75a155, v9
	v_add_f32_e32 v36, v13, v4
	v_add_f32_e32 v37, v10, v5
	v_mul_f32_e32 v13, 0x3f0a6770, v35
	v_fmamk_f32 v5, v25, 0x3e903f40, v12
	v_fma_f32 v9, 0xbf75a155, v32, -v9
	v_fmac_f32_e32 v12, 0xbe903f40, v25
	v_mul_f32_e32 v14, 0x3f575c64, v34
	v_add_f32_e32 v4, v11, v18
	v_fmamk_f32 v10, v32, 0x3f575c64, v13
	v_add_f32_e32 v5, v5, v8
	v_add_f32_e32 v8, v9, v16
	;; [unrolled: 1-line block ×3, first 2 shown]
	v_fmamk_f32 v11, v25, 0xbf0a6770, v14
	v_mul_f32_e32 v15, 0xbf4178ce, v35
	v_fma_f32 v12, 0x3f575c64, v32, -v13
	v_mul_f32_e32 v38, 0xbf27a4f4, v34
	v_add_f32_e32 v10, v10, v21
	v_fmac_f32_e32 v14, 0x3f0a6770, v25
	v_add_f32_e32 v11, v11, v22
	v_fmamk_f32 v16, v32, 0xbf27a4f4, v15
	v_fma_f32 v21, 0xbf27a4f4, v32, -v15
	v_mul_f32_e32 v22, 0x3ed4b147, v34
	v_add_f32_e32 v12, v12, v20
	v_fmamk_f32 v18, v25, 0x3f4178ce, v38
	v_mul_f32_e32 v20, 0x3f68dda4, v35
	v_add_f32_e32 v13, v14, v23
	v_add_f32_e32 v14, v16, v26
	;; [unrolled: 1-line block ×3, first 2 shown]
	v_fmamk_f32 v17, v25, 0xbf68dda4, v22
	v_mul_f32_e32 v21, 0xbf7d64f0, v35
	v_mul_f32_e32 v26, 0xbe11bafb, v34
	v_add_f32_e32 v15, v18, v27
	v_fmamk_f32 v18, v32, 0x3ed4b147, v20
	v_add_f32_e32 v19, v17, v19
	v_fmac_f32_e32 v22, 0x3f68dda4, v25
	v_fmamk_f32 v17, v32, 0xbe11bafb, v21
	v_fmamk_f32 v23, v25, 0x3f7d64f0, v26
	v_fma_f32 v20, 0x3ed4b147, v32, -v20
	v_add_f32_e32 v18, v18, v24
	v_fma_f32 v24, 0xbe11bafb, v32, -v21
	v_fmac_f32_e32 v26, 0xbf7d64f0, v25
	v_fmac_f32_e32 v38, 0xbf4178ce, v25
	v_add_f32_e32 v21, v22, v33
	v_add_f32_e32 v22, v17, v29
	;; [unrolled: 1-line block ×7, first 2 shown]
	ds_write2_b64 v117, v[6:7], v[4:5] offset1:117
	ds_write2_b64 v3, v[10:11], v[14:15] offset0:106 offset1:223
	ds_write2_b64 v1, v[18:19], v[22:23] offset0:84 offset1:201
	ds_write2_b64 v2, v[24:25], v[20:21] offset0:62 offset1:179
	ds_write2_b64 v0, v[16:17], v[12:13] offset0:40 offset1:157
	ds_write_b64 v117, v[8:9] offset:9360
	s_waitcnt lgkmcnt(0)
	s_barrier
	buffer_gl0_inv
	ds_read2_b64 v[0:3], v117 offset1:117
	v_add_nc_u32_e32 v5, 0x600, v117
	v_mad_u64_u32 v[12:13], null, s10, v92, 0
	v_mad_u64_u32 v[16:17], null, s8, v118, 0
	s_waitcnt lgkmcnt(0)
	v_mul_f32_e32 v8, v104, v1
	v_mul_f32_e32 v4, v104, v0
	v_fmac_f32_e32 v8, v103, v0
	v_fma_f32 v9, v103, v1, -v4
	ds_read2_b64 v[4:7], v5 offset0:42 offset1:237
	v_cvt_f64_f32_e32 v[0:1], v8
	v_cvt_f64_f32_e32 v[8:9], v9
	s_waitcnt lgkmcnt(0)
	v_mul_f32_e32 v10, v108, v7
	v_mul_f32_e32 v20, v108, v6
	;; [unrolled: 1-line block ×3, first 2 shown]
	v_fmac_f32_e32 v10, v107, v6
	v_mul_f64 v[14:15], v[8:9], s[2:3]
	v_add_nc_u32_e32 v8, 0x1800, v117
	v_mov_b32_e32 v6, v13
	v_fma_f32 v13, v107, v7, -v20
	v_cvt_f64_f32_e32 v[18:19], v10
	v_mov_b32_e32 v7, v17
	ds_read2_b64 v[8:11], v8 offset0:90 offset1:207
	v_mul_f64 v[0:1], v[0:1], s[2:3]
	v_fmac_f32_e32 v26, v90, v4
	v_mul_f32_e32 v4, v91, v4
	v_mad_u64_u32 v[20:21], null, s11, v92, v[6:7]
	v_cvt_f64_f32_e32 v[21:22], v13
	v_cvt_f64_f32_e32 v[26:27], v26
	v_fma_f32 v4, v90, v5, -v4
	v_mov_b32_e32 v13, v20
	v_mul_f32_e32 v20, v94, v3
	v_cvt_f64_f32_e32 v[4:5], v4
	v_fmac_f32_e32 v20, v93, v2
	v_mul_f32_e32 v2, v94, v2
	s_waitcnt lgkmcnt(0)
	v_mad_u64_u32 v[6:7], null, s9, v118, v[7:8]
	v_mul_f32_e32 v25, v98, v10
	v_cvt_f32_f64_e32 v0, v[0:1]
	v_cvt_f32_f64_e32 v1, v[14:15]
	v_mul_f32_e32 v14, v106, v8
	v_fma_f32 v25, v97, v11, -v25
	v_mov_b32_e32 v17, v6
	v_lshlrev_b64 v[6:7], 3, v[12:13]
	v_mul_f64 v[12:13], v[18:19], s[2:3]
	v_mul_f32_e32 v18, v106, v9
	v_mul_f64 v[26:27], v[26:27], s[2:3]
	v_add_co_u32 v23, s0, s6, v6
	v_fmac_f32_e32 v18, v105, v8
	v_add_co_ci_u32_e64 v24, s0, s7, v7, s0
	v_lshlrev_b64 v[6:7], 3, v[16:17]
	v_fma_f32 v8, v105, v9, -v14
	v_cvt_f64_f32_e32 v[16:17], v18
	v_mul_f64 v[14:15], v[21:22], s[2:3]
	v_cvt_f64_f32_e32 v[20:21], v20
	v_mul_f64 v[4:5], v[4:5], s[2:3]
	v_cvt_f64_f32_e32 v[18:19], v8
	v_add_nc_u32_e32 v8, 0x1000, v117
	v_add_co_u32 v22, s0, v23, v6
	v_add_co_ci_u32_e64 v23, s0, v24, v7, s0
	ds_read2_b64 v[6:9], v8 offset0:34 offset1:151
	v_fma_f32 v24, v93, v3, -v2
	s_mul_i32 s0, s9, 0x1ad
	global_store_dwordx2 v[22:23], v[0:1], off
	v_cvt_f32_f64_e32 v0, v[12:13]
	s_add_i32 s1, s1, s0
	s_mul_i32 s0, s8, 0x1ad
	s_lshl_b64 s[4:5], s[0:1], 3
	s_mul_i32 s1, s9, 0xfffffd1b
	v_add_co_u32 v22, s0, v22, s4
	v_mul_f64 v[2:3], v[16:17], s[2:3]
	ds_read_b64 v[16:17], v117 offset:8736
	v_cvt_f32_f64_e32 v1, v[14:15]
	v_mul_f64 v[14:15], v[20:21], s[2:3]
	v_mul_f64 v[12:13], v[18:19], s[2:3]
	v_cvt_f64_f32_e32 v[18:19], v24
	v_mul_f32_e32 v24, v98, v11
	v_add_co_ci_u32_e64 v23, s0, s5, v23, s0
	s_waitcnt lgkmcnt(1)
	v_mul_f32_e32 v20, v96, v7
	v_mul_f32_e32 v21, v96, v6
	;; [unrolled: 1-line block ×4, first 2 shown]
	v_fmac_f32_e32 v24, v97, v10
	v_fmac_f32_e32 v20, v95, v6
	v_fma_f32 v21, v95, v7, -v21
	v_fma_f32 v29, v99, v9, -v29
	v_fmac_f32_e32 v28, v99, v8
	v_cvt_f64_f32_e32 v[6:7], v20
	v_cvt_f64_f32_e32 v[10:11], v21
	s_waitcnt lgkmcnt(0)
	v_mul_f32_e32 v30, v102, v17
	v_mul_f32_e32 v31, v102, v16
	v_cvt_f64_f32_e32 v[20:21], v24
	v_cvt_f64_f32_e32 v[24:25], v25
	;; [unrolled: 1-line block ×3, first 2 shown]
	v_fmac_f32_e32 v30, v101, v16
	v_fma_f32 v31, v101, v17, -v31
	v_cvt_f64_f32_e32 v[16:17], v29
	v_mul_f64 v[18:19], v[18:19], s[2:3]
	v_cvt_f32_f64_e32 v2, v[2:3]
	v_cvt_f64_f32_e32 v[28:29], v30
	v_cvt_f64_f32_e32 v[30:31], v31
	v_cvt_f32_f64_e32 v3, v[12:13]
	v_add_co_u32 v12, s0, v22, s4
	v_add_co_ci_u32_e64 v13, s0, s5, v23, s0
	s_mul_hi_u32 s0, s8, 0xfffffd1b
	v_cvt_f32_f64_e32 v14, v[14:15]
	s_sub_i32 s0, s0, s8
	v_mul_f64 v[6:7], v[6:7], s[2:3]
	v_mul_f64 v[10:11], v[10:11], s[2:3]
	s_add_i32 s1, s0, s1
	s_mul_i32 s0, s8, 0xfffffd1b
	v_mul_f64 v[20:21], v[20:21], s[2:3]
	v_mul_f64 v[24:25], v[24:25], s[2:3]
	;; [unrolled: 1-line block ×3, first 2 shown]
	s_lshl_b64 s[6:7], s[0:1], 3
	global_store_dwordx2 v[22:23], v[0:1], off
	v_mul_f64 v[16:17], v[16:17], s[2:3]
	v_cvt_f32_f64_e32 v15, v[18:19]
	v_add_co_u32 v18, s0, v12, s6
	v_mul_f64 v[28:29], v[28:29], s[2:3]
	v_mul_f64 v[30:31], v[30:31], s[2:3]
	v_add_co_ci_u32_e64 v19, s0, s7, v13, s0
	global_store_dwordx2 v[12:13], v[2:3], off
	v_cvt_f32_f64_e32 v6, v[6:7]
	v_cvt_f32_f64_e32 v7, v[10:11]
	v_add_co_u32 v10, s0, v18, s4
	v_add_co_ci_u32_e64 v11, s0, s5, v19, s0
	v_cvt_f32_f64_e32 v20, v[20:21]
	v_cvt_f32_f64_e32 v21, v[24:25]
	;; [unrolled: 1-line block ×4, first 2 shown]
	v_add_co_u32 v16, s0, v10, s4
	v_cvt_f32_f64_e32 v24, v[26:27]
	v_add_co_ci_u32_e64 v17, s0, s5, v11, s0
	v_cvt_f32_f64_e32 v4, v[8:9]
	v_cvt_f32_f64_e32 v8, v[28:29]
	;; [unrolled: 1-line block ×3, first 2 shown]
	v_add_co_u32 v22, s0, v16, s6
	v_add_co_ci_u32_e64 v23, s0, s7, v17, s0
	global_store_dwordx2 v[18:19], v[14:15], off
	v_add_co_u32 v2, s0, v22, s4
	v_add_co_ci_u32_e64 v3, s0, s5, v23, s0
	v_add_co_u32 v0, s0, v2, s4
	v_add_co_ci_u32_e64 v1, s0, s5, v3, s0
	global_store_dwordx2 v[10:11], v[6:7], off
	global_store_dwordx2 v[16:17], v[20:21], off
	;; [unrolled: 1-line block ×5, first 2 shown]
	s_and_b32 exec_lo, exec_lo, vcc_lo
	s_cbranch_execz .LBB0_31
; %bb.30:
	s_clause 0x2
	global_load_dwordx2 v[2:3], v[88:89], off offset:760
	global_load_dwordx2 v[4:5], v[84:85], off offset:96
	;; [unrolled: 1-line block ×3, first 2 shown]
	ds_read_b64 v[8:9], v117 offset:2808
	ds_read_b64 v[10:11], v117 offset:6240
	;; [unrolled: 1-line block ×3, first 2 shown]
	v_add_co_u32 v0, vcc_lo, v0, s6
	v_add_co_ci_u32_e32 v1, vcc_lo, s7, v1, vcc_lo
	s_waitcnt vmcnt(2) lgkmcnt(2)
	v_mul_f32_e32 v14, v9, v3
	v_mul_f32_e32 v3, v8, v3
	s_waitcnt vmcnt(1) lgkmcnt(1)
	v_mul_f32_e32 v15, v11, v5
	v_mul_f32_e32 v5, v10, v5
	;; [unrolled: 3-line block ×3, first 2 shown]
	v_fmac_f32_e32 v14, v8, v2
	v_fma_f32 v8, v2, v9, -v3
	v_fmac_f32_e32 v15, v10, v4
	v_fma_f32 v9, v4, v11, -v5
	;; [unrolled: 2-line block ×3, first 2 shown]
	v_cvt_f64_f32_e32 v[2:3], v14
	v_cvt_f64_f32_e32 v[4:5], v8
	;; [unrolled: 1-line block ×6, first 2 shown]
	v_mul_f64 v[2:3], v[2:3], s[2:3]
	v_mul_f64 v[4:5], v[4:5], s[2:3]
	;; [unrolled: 1-line block ×6, first 2 shown]
	v_cvt_f32_f64_e32 v2, v[2:3]
	v_cvt_f32_f64_e32 v3, v[4:5]
	v_cvt_f32_f64_e32 v4, v[6:7]
	v_cvt_f32_f64_e32 v5, v[8:9]
	v_cvt_f32_f64_e32 v6, v[10:11]
	v_cvt_f32_f64_e32 v7, v[12:13]
	v_add_co_u32 v8, vcc_lo, v0, s4
	v_add_co_ci_u32_e32 v9, vcc_lo, s5, v1, vcc_lo
	v_add_co_u32 v10, vcc_lo, v8, s4
	v_add_co_ci_u32_e32 v11, vcc_lo, s5, v9, vcc_lo
	global_store_dwordx2 v[0:1], v[2:3], off
	global_store_dwordx2 v[8:9], v[4:5], off
	;; [unrolled: 1-line block ×3, first 2 shown]
.LBB0_31:
	s_endpgm
	.section	.rodata,"a",@progbits
	.p2align	6, 0x0
	.amdhsa_kernel bluestein_single_fwd_len1287_dim1_sp_op_CI_CI
		.amdhsa_group_segment_fixed_size 10296
		.amdhsa_private_segment_fixed_size 0
		.amdhsa_kernarg_size 104
		.amdhsa_user_sgpr_count 6
		.amdhsa_user_sgpr_private_segment_buffer 1
		.amdhsa_user_sgpr_dispatch_ptr 0
		.amdhsa_user_sgpr_queue_ptr 0
		.amdhsa_user_sgpr_kernarg_segment_ptr 1
		.amdhsa_user_sgpr_dispatch_id 0
		.amdhsa_user_sgpr_flat_scratch_init 0
		.amdhsa_user_sgpr_private_segment_size 0
		.amdhsa_wavefront_size32 1
		.amdhsa_uses_dynamic_stack 0
		.amdhsa_system_sgpr_private_segment_wavefront_offset 0
		.amdhsa_system_sgpr_workgroup_id_x 1
		.amdhsa_system_sgpr_workgroup_id_y 0
		.amdhsa_system_sgpr_workgroup_id_z 0
		.amdhsa_system_sgpr_workgroup_info 0
		.amdhsa_system_vgpr_workitem_id 0
		.amdhsa_next_free_vgpr 236
		.amdhsa_next_free_sgpr 16
		.amdhsa_reserve_vcc 1
		.amdhsa_reserve_flat_scratch 0
		.amdhsa_float_round_mode_32 0
		.amdhsa_float_round_mode_16_64 0
		.amdhsa_float_denorm_mode_32 3
		.amdhsa_float_denorm_mode_16_64 3
		.amdhsa_dx10_clamp 1
		.amdhsa_ieee_mode 1
		.amdhsa_fp16_overflow 0
		.amdhsa_workgroup_processor_mode 1
		.amdhsa_memory_ordered 1
		.amdhsa_forward_progress 0
		.amdhsa_shared_vgpr_count 0
		.amdhsa_exception_fp_ieee_invalid_op 0
		.amdhsa_exception_fp_denorm_src 0
		.amdhsa_exception_fp_ieee_div_zero 0
		.amdhsa_exception_fp_ieee_overflow 0
		.amdhsa_exception_fp_ieee_underflow 0
		.amdhsa_exception_fp_ieee_inexact 0
		.amdhsa_exception_int_div_zero 0
	.end_amdhsa_kernel
	.text
.Lfunc_end0:
	.size	bluestein_single_fwd_len1287_dim1_sp_op_CI_CI, .Lfunc_end0-bluestein_single_fwd_len1287_dim1_sp_op_CI_CI
                                        ; -- End function
	.section	.AMDGPU.csdata,"",@progbits
; Kernel info:
; codeLenInByte = 17484
; NumSgprs: 18
; NumVgprs: 236
; ScratchSize: 0
; MemoryBound: 0
; FloatMode: 240
; IeeeMode: 1
; LDSByteSize: 10296 bytes/workgroup (compile time only)
; SGPRBlocks: 2
; VGPRBlocks: 29
; NumSGPRsForWavesPerEU: 18
; NumVGPRsForWavesPerEU: 236
; Occupancy: 4
; WaveLimiterHint : 1
; COMPUTE_PGM_RSRC2:SCRATCH_EN: 0
; COMPUTE_PGM_RSRC2:USER_SGPR: 6
; COMPUTE_PGM_RSRC2:TRAP_HANDLER: 0
; COMPUTE_PGM_RSRC2:TGID_X_EN: 1
; COMPUTE_PGM_RSRC2:TGID_Y_EN: 0
; COMPUTE_PGM_RSRC2:TGID_Z_EN: 0
; COMPUTE_PGM_RSRC2:TIDIG_COMP_CNT: 0
	.text
	.p2alignl 6, 3214868480
	.fill 48, 4, 3214868480
	.type	__hip_cuid_68233962034ae75,@object ; @__hip_cuid_68233962034ae75
	.section	.bss,"aw",@nobits
	.globl	__hip_cuid_68233962034ae75
__hip_cuid_68233962034ae75:
	.byte	0                               ; 0x0
	.size	__hip_cuid_68233962034ae75, 1

	.ident	"AMD clang version 19.0.0git (https://github.com/RadeonOpenCompute/llvm-project roc-6.4.0 25133 c7fe45cf4b819c5991fe208aaa96edf142730f1d)"
	.section	".note.GNU-stack","",@progbits
	.addrsig
	.addrsig_sym __hip_cuid_68233962034ae75
	.amdgpu_metadata
---
amdhsa.kernels:
  - .args:
      - .actual_access:  read_only
        .address_space:  global
        .offset:         0
        .size:           8
        .value_kind:     global_buffer
      - .actual_access:  read_only
        .address_space:  global
        .offset:         8
        .size:           8
        .value_kind:     global_buffer
      - .actual_access:  read_only
        .address_space:  global
        .offset:         16
        .size:           8
        .value_kind:     global_buffer
      - .actual_access:  read_only
        .address_space:  global
        .offset:         24
        .size:           8
        .value_kind:     global_buffer
      - .actual_access:  read_only
        .address_space:  global
        .offset:         32
        .size:           8
        .value_kind:     global_buffer
      - .offset:         40
        .size:           8
        .value_kind:     by_value
      - .address_space:  global
        .offset:         48
        .size:           8
        .value_kind:     global_buffer
      - .address_space:  global
        .offset:         56
        .size:           8
        .value_kind:     global_buffer
      - .address_space:  global
        .offset:         64
        .size:           8
        .value_kind:     global_buffer
      - .address_space:  global
        .offset:         72
        .size:           8
        .value_kind:     global_buffer
      - .offset:         80
        .size:           4
        .value_kind:     by_value
      - .address_space:  global
        .offset:         88
        .size:           8
        .value_kind:     global_buffer
      - .address_space:  global
        .offset:         96
        .size:           8
        .value_kind:     global_buffer
    .group_segment_fixed_size: 10296
    .kernarg_segment_align: 8
    .kernarg_segment_size: 104
    .language:       OpenCL C
    .language_version:
      - 2
      - 0
    .max_flat_workgroup_size: 117
    .name:           bluestein_single_fwd_len1287_dim1_sp_op_CI_CI
    .private_segment_fixed_size: 0
    .sgpr_count:     18
    .sgpr_spill_count: 0
    .symbol:         bluestein_single_fwd_len1287_dim1_sp_op_CI_CI.kd
    .uniform_work_group_size: 1
    .uses_dynamic_stack: false
    .vgpr_count:     236
    .vgpr_spill_count: 0
    .wavefront_size: 32
    .workgroup_processor_mode: 1
amdhsa.target:   amdgcn-amd-amdhsa--gfx1030
amdhsa.version:
  - 1
  - 2
...

	.end_amdgpu_metadata
